;; amdgpu-corpus repo=ROCm/rocFFT kind=compiled arch=gfx1030 opt=O3
	.text
	.amdgcn_target "amdgcn-amd-amdhsa--gfx1030"
	.amdhsa_code_object_version 6
	.protected	bluestein_single_back_len2023_dim1_half_op_CI_CI ; -- Begin function bluestein_single_back_len2023_dim1_half_op_CI_CI
	.globl	bluestein_single_back_len2023_dim1_half_op_CI_CI
	.p2align	8
	.type	bluestein_single_back_len2023_dim1_half_op_CI_CI,@function
bluestein_single_back_len2023_dim1_half_op_CI_CI: ; @bluestein_single_back_len2023_dim1_half_op_CI_CI
; %bb.0:
	s_load_dwordx4 s[12:15], s[4:5], 0x28
	v_mul_u32_u24_e32 v1, 0x227, v0
	v_mov_b32_e32 v29, 0
	s_mov_b32 s0, exec_lo
	v_lshrrev_b32_e32 v1, 16, v1
	v_add_nc_u32_e32 v28, s6, v1
	s_waitcnt lgkmcnt(0)
	v_cmpx_gt_u64_e64 s[12:13], v[28:29]
	s_cbranch_execz .LBB0_10
; %bb.1:
	s_clause 0x1
	s_load_dwordx4 s[8:11], s[4:5], 0x18
	s_load_dwordx4 s[0:3], s[4:5], 0x0
	v_mul_lo_u16 v1, 0x77, v1
	s_load_dwordx2 s[4:5], s[4:5], 0x38
	v_sub_nc_u16 v26, v0, v1
	v_and_b32_e32 v65, 0xffff, v26
	v_lshlrev_b32_e32 v49, 2, v65
	s_waitcnt lgkmcnt(0)
	s_load_dwordx4 s[16:19], s[8:9], 0x0
	s_clause 0x4
	global_load_dword v67, v49, s[0:1]
	global_load_dword v66, v49, s[0:1] offset:476
	global_load_dword v64, v49, s[0:1] offset:952
	;; [unrolled: 1-line block ×4, first 2 shown]
	v_add_co_u32 v39, s6, s0, v49
	v_add_co_ci_u32_e64 v40, null, s1, 0, s6
	v_add_nc_u32_e32 v10, 0xe00, v49
	v_add_nc_u32_e32 v16, 0x1600, v49
	s_waitcnt lgkmcnt(0)
	v_mad_u64_u32 v[0:1], null, s18, v28, 0
	v_mad_u64_u32 v[2:3], null, s16, v65, 0
	s_mul_i32 s1, s17, 0x1dc
	s_mul_hi_u32 s6, s16, 0x1dc
	s_mul_i32 s0, s16, 0x1dc
	s_add_i32 s1, s6, s1
	v_mad_u64_u32 v[4:5], null, s19, v28, v[1:2]
	v_mad_u64_u32 v[5:6], null, s17, v65, v[3:4]
	v_mov_b32_e32 v1, v4
	v_add_co_u32 v4, vcc_lo, 0x800, v39
	v_lshlrev_b64 v[0:1], 2, v[0:1]
	v_mov_b32_e32 v3, v5
	v_add_co_ci_u32_e32 v5, vcc_lo, 0, v40, vcc_lo
	v_lshlrev_b64 v[2:3], 2, v[2:3]
	v_add_co_u32 v0, vcc_lo, s14, v0
	v_add_co_ci_u32_e32 v1, vcc_lo, s15, v1, vcc_lo
	v_add_co_u32 v0, vcc_lo, v0, v2
	v_add_co_ci_u32_e32 v1, vcc_lo, v1, v3, vcc_lo
	;; [unrolled: 2-line block ×3, first 2 shown]
	s_clause 0x1
	global_load_dword v8, v[0:1], off
	global_load_dword v9, v[2:3], off
	v_add_co_u32 v0, vcc_lo, v2, s0
	v_add_co_ci_u32_e32 v1, vcc_lo, s1, v3, vcc_lo
	v_add_co_u32 v2, vcc_lo, v0, s0
	v_add_co_ci_u32_e32 v3, vcc_lo, s1, v1, vcc_lo
	;; [unrolled: 2-line block ×3, first 2 shown]
	s_clause 0x1
	global_load_dword v11, v[0:1], off
	global_load_dword v12, v[2:3], off
	v_add_co_u32 v0, vcc_lo, v2, s0
	v_add_co_ci_u32_e32 v1, vcc_lo, s1, v3, vcc_lo
	s_clause 0x2
	global_load_dword v61, v[4:5], off offset:332
	global_load_dword v60, v[4:5], off offset:808
	global_load_dword v59, v[4:5], off offset:1284
	v_add_co_u32 v2, vcc_lo, v0, s0
	v_add_co_ci_u32_e32 v3, vcc_lo, s1, v1, vcc_lo
	global_load_dword v13, v[0:1], off
	v_add_co_u32 v0, vcc_lo, v2, s0
	v_add_co_ci_u32_e32 v1, vcc_lo, s1, v3, vcc_lo
	global_load_dword v14, v[2:3], off
	;; [unrolled: 3-line block ×4, first 2 shown]
	v_add_co_u32 v2, vcc_lo, v0, s0
	v_add_co_ci_u32_e32 v3, vcc_lo, s1, v1, vcc_lo
	v_add_co_u32 v29, vcc_lo, 0x1800, v39
	v_add_co_ci_u32_e32 v30, vcc_lo, 0, v40, vcc_lo
	global_load_dword v58, v[4:5], off offset:1760
	global_load_dword v5, v[0:1], off
	global_load_dword v18, v[2:3], off
	v_add_co_u32 v0, vcc_lo, v2, s0
	v_add_co_ci_u32_e32 v1, vcc_lo, s1, v3, vcc_lo
	s_clause 0x3
	global_load_dword v57, v[6:7], off offset:188
	global_load_dword v56, v[6:7], off offset:664
	;; [unrolled: 1-line block ×4, first 2 shown]
	global_load_dword v19, v[0:1], off
	v_add_co_u32 v0, vcc_lo, v0, s0
	v_add_co_ci_u32_e32 v1, vcc_lo, s1, v1, vcc_lo
	global_load_dword v53, v[29:30], off offset:44
	v_add_co_u32 v2, vcc_lo, v0, s0
	v_add_co_ci_u32_e32 v3, vcc_lo, s1, v1, vcc_lo
	global_load_dword v20, v[0:1], off
	v_add_co_u32 v0, vcc_lo, v2, s0
	v_add_co_ci_u32_e32 v1, vcc_lo, s1, v3, vcc_lo
	global_load_dword v21, v[2:3], off
	;; [unrolled: 3-line block ×4, first 2 shown]
	v_add_co_u32 v2, vcc_lo, v0, s0
	v_add_co_ci_u32_e32 v3, vcc_lo, s1, v1, vcc_lo
	global_load_dword v52, v[29:30], off offset:520
	global_load_dword v0, v[0:1], off
	global_load_dword v1, v[2:3], off
	s_clause 0x1
	global_load_dword v51, v[29:30], off offset:996
	global_load_dword v50, v[29:30], off offset:1472
	v_add_nc_u32_e32 v7, 0x200, v49
	v_add_nc_u32_e32 v4, 0x600, v49
	;; [unrolled: 1-line block ×5, first 2 shown]
	s_load_dwordx4 s[8:11], s[10:11], 0x0
	v_cmp_gt_u16_e32 vcc_lo, 51, v26
	s_waitcnt vmcnt(28)
	v_lshrrev_b32_e32 v24, 16, v8
	v_mul_f16_sdwa v25, v67, v8 dst_sel:DWORD dst_unused:UNUSED_PAD src0_sel:WORD_1 src1_sel:DWORD
	s_waitcnt vmcnt(27)
	v_lshrrev_b32_e32 v31, 16, v9
	v_mul_f16_sdwa v32, v66, v9 dst_sel:DWORD dst_unused:UNUSED_PAD src0_sel:WORD_1 src1_sel:DWORD
	v_mul_f16_sdwa v27, v67, v24 dst_sel:DWORD dst_unused:UNUSED_PAD src0_sel:WORD_1 src1_sel:DWORD
	v_fma_f16 v24, v67, v24, -v25
	v_fmac_f16_e32 v27, v67, v8
	v_mul_f16_sdwa v8, v66, v31 dst_sel:DWORD dst_unused:UNUSED_PAD src0_sel:WORD_1 src1_sel:DWORD
	v_fma_f16 v31, v66, v31, -v32
	v_pack_b32_f16 v24, v27, v24
	s_waitcnt vmcnt(26)
	v_lshrrev_b32_e32 v25, 16, v11
	v_mul_f16_sdwa v32, v64, v11 dst_sel:DWORD dst_unused:UNUSED_PAD src0_sel:WORD_1 src1_sel:DWORD
	v_fmac_f16_e32 v8, v66, v9
	s_waitcnt vmcnt(25)
	v_lshrrev_b32_e32 v27, 16, v12
	v_mul_f16_sdwa v33, v63, v12 dst_sel:DWORD dst_unused:UNUSED_PAD src0_sel:WORD_1 src1_sel:DWORD
	v_mul_f16_sdwa v9, v64, v25 dst_sel:DWORD dst_unused:UNUSED_PAD src0_sel:WORD_1 src1_sel:DWORD
	v_fma_f16 v25, v64, v25, -v32
	v_pack_b32_f16 v8, v8, v31
	v_fmac_f16_e32 v9, v64, v11
	v_mul_f16_sdwa v11, v63, v27 dst_sel:DWORD dst_unused:UNUSED_PAD src0_sel:WORD_1 src1_sel:DWORD
	s_waitcnt vmcnt(21)
	v_lshrrev_b32_e32 v31, 16, v13
	v_fma_f16 v27, v63, v27, -v33
	v_mul_f16_sdwa v32, v62, v13 dst_sel:DWORD dst_unused:UNUSED_PAD src0_sel:WORD_1 src1_sel:DWORD
	ds_write2_b32 v49, v24, v8 offset1:119
	v_pack_b32_f16 v8, v9, v25
	v_fmac_f16_e32 v11, v63, v12
	v_mul_f16_sdwa v9, v62, v31 dst_sel:DWORD dst_unused:UNUSED_PAD src0_sel:WORD_1 src1_sel:DWORD
	s_waitcnt vmcnt(20)
	v_lshrrev_b32_e32 v12, 16, v14
	v_mul_f16_sdwa v24, v61, v14 dst_sel:DWORD dst_unused:UNUSED_PAD src0_sel:WORD_1 src1_sel:DWORD
	v_fma_f16 v25, v62, v31, -v32
	v_pack_b32_f16 v11, v11, v27
	v_fmac_f16_e32 v9, v62, v13
	v_mul_f16_sdwa v13, v61, v12 dst_sel:DWORD dst_unused:UNUSED_PAD src0_sel:WORD_1 src1_sel:DWORD
	v_fma_f16 v12, v61, v12, -v24
	s_waitcnt vmcnt(19)
	v_lshrrev_b32_e32 v24, 16, v15
	v_mul_f16_sdwa v27, v60, v15 dst_sel:DWORD dst_unused:UNUSED_PAD src0_sel:WORD_1 src1_sel:DWORD
	ds_write2_b32 v7, v8, v11 offset0:110 offset1:229
	v_pack_b32_f16 v8, v9, v25
	v_fmac_f16_e32 v13, v61, v14
	v_mul_f16_sdwa v9, v60, v24 dst_sel:DWORD dst_unused:UNUSED_PAD src0_sel:WORD_1 src1_sel:DWORD
	s_waitcnt vmcnt(18)
	v_lshrrev_b32_e32 v11, 16, v17
	v_mul_f16_sdwa v14, v59, v17 dst_sel:DWORD dst_unused:UNUSED_PAD src0_sel:WORD_1 src1_sel:DWORD
	v_fma_f16 v24, v60, v24, -v27
	v_pack_b32_f16 v12, v13, v12
	v_fmac_f16_e32 v9, v60, v15
	v_mul_f16_sdwa v13, v59, v11 dst_sel:DWORD dst_unused:UNUSED_PAD src0_sel:WORD_1 src1_sel:DWORD
	v_fma_f16 v11, v59, v11, -v14
	s_waitcnt vmcnt(16)
	v_lshrrev_b32_e32 v14, 16, v5
	v_mul_f16_sdwa v15, v58, v5 dst_sel:DWORD dst_unused:UNUSED_PAD src0_sel:WORD_1 src1_sel:DWORD
	ds_write2_b32 v4, v8, v12 offset0:92 offset1:211
	v_pack_b32_f16 v8, v9, v24
	v_fmac_f16_e32 v13, v59, v17
	v_mul_f16_sdwa v9, v58, v14 dst_sel:DWORD dst_unused:UNUSED_PAD src0_sel:WORD_1 src1_sel:DWORD
	s_waitcnt vmcnt(15)
	v_lshrrev_b32_e32 v12, 16, v18
	s_waitcnt vmcnt(14)
	v_mul_f16_sdwa v17, v57, v18 dst_sel:DWORD dst_unused:UNUSED_PAD src0_sel:WORD_1 src1_sel:DWORD
	v_fma_f16 v14, v58, v14, -v15
	v_pack_b32_f16 v11, v13, v11
	v_fmac_f16_e32 v9, v58, v5
	v_mul_f16_sdwa v5, v57, v12 dst_sel:DWORD dst_unused:UNUSED_PAD src0_sel:WORD_1 src1_sel:DWORD
	s_waitcnt vmcnt(10)
	v_lshrrev_b32_e32 v13, 16, v19
	v_fma_f16 v12, v57, v12, -v17
	v_mul_f16_sdwa v15, v56, v19 dst_sel:DWORD dst_unused:UNUSED_PAD src0_sel:WORD_1 src1_sel:DWORD
	ds_write2_b32 v3, v8, v11 offset0:74 offset1:193
	v_pack_b32_f16 v8, v9, v14
	v_fmac_f16_e32 v5, v57, v18
	v_mul_f16_sdwa v9, v56, v13 dst_sel:DWORD dst_unused:UNUSED_PAD src0_sel:WORD_1 src1_sel:DWORD
	s_waitcnt vmcnt(8)
	v_lshrrev_b32_e32 v11, 16, v20
	v_mul_f16_sdwa v14, v55, v20 dst_sel:DWORD dst_unused:UNUSED_PAD src0_sel:WORD_1 src1_sel:DWORD
	v_fma_f16 v13, v56, v13, -v15
	v_pack_b32_f16 v5, v5, v12
	v_fmac_f16_e32 v9, v56, v19
	v_mul_f16_sdwa v12, v55, v11 dst_sel:DWORD dst_unused:UNUSED_PAD src0_sel:WORD_1 src1_sel:DWORD
	v_fma_f16 v11, v55, v11, -v14
	s_waitcnt vmcnt(7)
	v_lshrrev_b32_e32 v14, 16, v21
	v_mul_f16_sdwa v15, v54, v21 dst_sel:DWORD dst_unused:UNUSED_PAD src0_sel:WORD_1 src1_sel:DWORD
	v_pack_b32_f16 v9, v9, v13
	v_fmac_f16_e32 v12, v55, v20
	s_waitcnt vmcnt(6)
	v_lshrrev_b32_e32 v13, 16, v22
	v_mul_f16_sdwa v17, v54, v14 dst_sel:DWORD dst_unused:UNUSED_PAD src0_sel:WORD_1 src1_sel:DWORD
	v_fma_f16 v14, v54, v14, -v15
	v_mul_f16_sdwa v15, v53, v22 dst_sel:DWORD dst_unused:UNUSED_PAD src0_sel:WORD_1 src1_sel:DWORD
	v_pack_b32_f16 v11, v12, v11
	v_mul_f16_sdwa v12, v53, v13 dst_sel:DWORD dst_unused:UNUSED_PAD src0_sel:WORD_1 src1_sel:DWORD
	s_waitcnt vmcnt(5)
	v_lshrrev_b32_e32 v18, 16, v23
	s_waitcnt vmcnt(3)
	v_lshrrev_b32_e32 v19, 16, v0
	v_fma_f16 v13, v53, v13, -v15
	v_mul_f16_sdwa v15, v52, v23 dst_sel:DWORD dst_unused:UNUSED_PAD src0_sel:WORD_1 src1_sel:DWORD
	v_fmac_f16_e32 v17, v54, v21
	s_waitcnt vmcnt(2)
	v_lshrrev_b32_e32 v21, 16, v1
	v_fmac_f16_e32 v12, v53, v22
	v_mul_f16_sdwa v20, v52, v18 dst_sel:DWORD dst_unused:UNUSED_PAD src0_sel:WORD_1 src1_sel:DWORD
	v_fma_f16 v15, v52, v18, -v15
	s_waitcnt vmcnt(1)
	v_mul_f16_sdwa v18, v51, v0 dst_sel:DWORD dst_unused:UNUSED_PAD src0_sel:WORD_1 src1_sel:DWORD
	v_mul_f16_sdwa v22, v51, v19 dst_sel:DWORD dst_unused:UNUSED_PAD src0_sel:WORD_1 src1_sel:DWORD
	s_waitcnt vmcnt(0)
	v_mul_f16_sdwa v24, v50, v1 dst_sel:DWORD dst_unused:UNUSED_PAD src0_sel:WORD_1 src1_sel:DWORD
	v_mul_f16_sdwa v25, v50, v21 dst_sel:DWORD dst_unused:UNUSED_PAD src0_sel:WORD_1 src1_sel:DWORD
	v_fmac_f16_e32 v20, v52, v23
	v_fma_f16 v18, v51, v19, -v18
	v_fmac_f16_e32 v22, v51, v0
	v_fma_f16 v0, v50, v21, -v24
	v_fmac_f16_e32 v25, v50, v1
	v_pack_b32_f16 v1, v17, v14
	v_pack_b32_f16 v12, v12, v13
	;; [unrolled: 1-line block ×5, first 2 shown]
	ds_write2_b32 v10, v8, v5 offset0:56 offset1:175
	ds_write2_b32 v2, v9, v11 offset0:38 offset1:157
	;; [unrolled: 1-line block ×4, first 2 shown]
	ds_write_b32 v49, v0 offset:7616
	s_waitcnt lgkmcnt(0)
	s_barrier
	buffer_gl0_inv
	ds_read2_b32 v[0:1], v49 offset1:119
	ds_read_b32 v12, v49 offset:7616
	ds_read2_b32 v[8:9], v3 offset0:74 offset1:193
	ds_read2_b32 v[2:3], v2 offset0:38 offset1:157
	;; [unrolled: 1-line block ×7, first 2 shown]
	s_waitcnt lgkmcnt(0)
	s_barrier
	buffer_gl0_inv
	v_add_f16_e32 v47, v1, v0
	v_sub_f16_sdwa v43, v1, v12 dst_sel:DWORD dst_unused:UNUSED_PAD src0_sel:WORD_1 src1_sel:WORD_1
	v_sub_f16_e32 v44, v1, v12
	v_add_f16_e32 v45, v12, v1
	v_add_f16_sdwa v48, v1, v0 dst_sel:DWORD dst_unused:UNUSED_PAD src0_sel:WORD_1 src1_sel:WORD_1
	v_add_f16_sdwa v46, v12, v1 dst_sel:DWORD dst_unused:UNUSED_PAD src0_sel:WORD_1 src1_sel:WORD_1
	v_mul_f16_e32 v76, 0xb5c8, v43
	v_mul_f16_e32 v77, 0xb5c8, v44
	v_add_f16_e32 v68, v7, v41
	v_add_f16_sdwa v69, v7, v41 dst_sel:DWORD dst_unused:UNUSED_PAD src0_sel:WORD_1 src1_sel:WORD_1
	v_sub_f16_e32 v70, v41, v7
	v_sub_f16_sdwa v71, v41, v7 dst_sel:DWORD dst_unused:UNUSED_PAD src0_sel:WORD_1 src1_sel:WORD_1
	v_add_f16_e32 v72, v6, v42
	v_sub_f16_e32 v74, v42, v6
	v_sub_f16_sdwa v75, v42, v6 dst_sel:DWORD dst_unused:UNUSED_PAD src0_sel:WORD_1 src1_sel:WORD_1
	v_mul_f16_e32 v78, 0xb964, v43
	v_mul_f16_e32 v79, 0xb964, v44
	;; [unrolled: 1-line block ×11, first 2 shown]
	v_pack_b32_f16 v89, v44, v45
	v_mul_f16_e32 v44, 0xb836, v44
	v_add_f16_e32 v47, v47, v41
	v_add_f16_sdwa v41, v48, v41 dst_sel:DWORD dst_unused:UNUSED_PAD src0_sel:DWORD src1_sel:WORD_1
	v_add_f16_sdwa v73, v6, v42 dst_sel:DWORD dst_unused:UNUSED_PAD src0_sel:WORD_1 src1_sel:WORD_1
	v_pack_b32_f16 v43, v46, v43
	v_mul_f16_e32 v48, 0xb964, v71
	v_mul_f16_e32 v90, 0xbbf7, v71
	;; [unrolled: 1-line block ×7, first 2 shown]
	v_pack_b32_f16 v96, v70, v68
	v_mul_f16_e32 v97, 0xb964, v70
	v_mul_f16_e32 v98, 0xbbf7, v70
	;; [unrolled: 1-line block ×14, first 2 shown]
	v_pack_b32_f16 v110, v74, v72
	v_mul_f16_e32 v111, 0xbb29, v74
	v_mul_f16_e32 v112, 0xba62, v74
	;; [unrolled: 1-line block ×7, first 2 shown]
	v_fma_f16 v122, v45, 0x3b76, -v76
	v_fmac_f16_e32 v76, 0x3b76, v45
	v_fma_f16 v123, v45, 0x39e9, -v78
	v_fmac_f16_e32 v78, 0x39e9, v45
	;; [unrolled: 2-line block ×7, first 2 shown]
	v_fmamk_f16 v45, v46, 0x3b76, v77
	v_fma_f16 v77, v46, 0x3b76, -v77
	v_fmamk_f16 v129, v46, 0x39e9, v79
	v_fma_f16 v79, v46, 0x39e9, -v79
	;; [unrolled: 2-line block ×7, first 2 shown]
	v_pk_mul_f16 v46, 0xbbddb1e1, v89
	v_add_f16_e32 v47, v47, v42
	v_add_f16_sdwa v41, v41, v42 dst_sel:DWORD dst_unused:UNUSED_PAD src0_sel:DWORD src1_sel:WORD_1
	v_add_f16_e32 v34, v5, v37
	v_add_f16_sdwa v33, v5, v37 dst_sel:DWORD dst_unused:UNUSED_PAD src0_sel:WORD_1 src1_sel:WORD_1
	v_sub_f16_e32 v36, v37, v5
	v_sub_f16_sdwa v35, v37, v5 dst_sel:DWORD dst_unused:UNUSED_PAD src0_sel:WORD_1 src1_sel:WORD_1
	v_pack_b32_f16 v71, v69, v71
	v_pack_b32_f16 v75, v73, v75
	v_fma_f16 v42, v68, 0x39e9, -v48
	v_fmac_f16_e32 v48, 0x39e9, v68
	v_fma_f16 v89, v68, 0x2de8, -v90
	v_fmac_f16_e32 v90, 0x2de8, v68
	;; [unrolled: 2-line block ×7, first 2 shown]
	v_fmamk_f16 v68, v69, 0x39e9, v97
	v_fma_f16 v97, v69, 0x39e9, -v97
	v_fmamk_f16 v140, v69, 0x2de8, v98
	v_fma_f16 v98, v69, 0x2de8, -v98
	v_fmamk_f16 v141, v69, 0xb8d2, v99
	v_fma_f16 v99, v69, 0xb8d2, -v99
	v_fmamk_f16 v142, v69, 0xbbdd, v100
	v_fma_f16 v100, v69, 0xbbdd, -v100
	v_fmamk_f16 v143, v69, 0xbacd, v101
	v_fma_f16 v101, v69, 0xbacd, -v101
	v_fmamk_f16 v144, v69, 0xb461, v102
	v_fma_f16 v102, v69, 0xb461, -v102
	v_fmamk_f16 v145, v69, 0x3722, v70
	v_fma_f16 v69, v69, 0x3722, -v70
	v_fma_f16 v70, v72, 0x3722, -v103
	v_fmac_f16_e32 v103, 0x3722, v72
	v_fma_f16 v146, v72, 0xb8d2, -v104
	v_fmac_f16_e32 v104, 0xb8d2, v72
	;; [unrolled: 2-line block ×7, first 2 shown]
	v_fmamk_f16 v72, v73, 0x3722, v111
	v_fma_f16 v111, v73, 0x3722, -v111
	v_fmamk_f16 v152, v73, 0xb8d2, v112
	v_fma_f16 v112, v73, 0xb8d2, -v112
	;; [unrolled: 2-line block ×7, first 2 shown]
	v_pk_mul_f16 v74, 0x3b7635c8, v96
	v_pk_mul_f16 v96, 0xbacdb836, v110
	v_pk_fma_f16 v162, 0xb1e1bbdd, v43, v46 neg_lo:[0,1,0] neg_hi:[0,1,0]
	v_pk_fma_f16 v163, 0xb1e1bbdd, v43, v46
	v_pk_fma_f16 v43, 0xb1e1bbdd, v43, v46 neg_lo:[0,0,1] neg_hi:[0,0,1]
	v_add_f16_e32 v47, v47, v37
	v_add_f16_sdwa v37, v41, v37 dst_sel:DWORD dst_unused:UNUSED_PAD src0_sel:DWORD src1_sel:WORD_1
	v_add_f16_e32 v46, v122, v0
	v_add_f16_sdwa v45, v45, v0 dst_sel:DWORD dst_unused:UNUSED_PAD src0_sel:DWORD src1_sel:WORD_1
	;; [unrolled: 2-line block ×15, first 2 shown]
	v_pk_fma_f16 v41, 0x35c83b76, v71, v74 neg_lo:[0,1,0] neg_hi:[0,1,0]
	v_pk_fma_f16 v134, 0x35c83b76, v71, v74
	v_pk_fma_f16 v71, 0x35c83b76, v71, v74 neg_lo:[0,0,1] neg_hi:[0,0,1]
	v_pk_fma_f16 v74, 0xb836bacd, v75, v96 neg_lo:[0,1,0] neg_hi:[0,1,0]
	v_pk_fma_f16 v164, 0xb836bacd, v75, v96
	v_pk_fma_f16 v75, 0xb836bacd, v75, v96 neg_lo:[0,0,1] neg_hi:[0,0,1]
	v_pk_add_f16 v96, v162, v0 op_sel:[0,1] op_sel_hi:[1,0]
	v_pk_add_f16 v162, v163, v0 op_sel:[0,1] op_sel_hi:[1,0]
	;; [unrolled: 1-line block ×3, first 2 shown]
	v_add_f16_e32 v43, v47, v38
	v_add_f16_sdwa v37, v37, v38 dst_sel:DWORD dst_unused:UNUSED_PAD src0_sel:DWORD src1_sel:WORD_1
	v_add_f16_e32 v22, v3, v8
	v_add_f16_sdwa v21, v3, v8 dst_sel:DWORD dst_unused:UNUSED_PAD src0_sel:WORD_1 src1_sel:WORD_1
	v_sub_f16_e32 v24, v8, v3
	v_sub_f16_sdwa v23, v8, v3 dst_sel:DWORD dst_unused:UNUSED_PAD src0_sel:WORD_1 src1_sel:WORD_1
	v_add_f16_e32 v43, v43, v8
	v_add_f16_sdwa v8, v37, v8 dst_sel:DWORD dst_unused:UNUSED_PAD src0_sel:DWORD src1_sel:WORD_1
	v_add_f16_e32 v18, v2, v9
	v_add_f16_sdwa v17, v2, v9 dst_sel:DWORD dst_unused:UNUSED_PAD src0_sel:WORD_1 src1_sel:WORD_1
	v_sub_f16_e32 v20, v9, v2
	v_add_f16_e32 v43, v43, v9
	v_add_f16_sdwa v8, v8, v9 dst_sel:DWORD dst_unused:UNUSED_PAD src0_sel:DWORD src1_sel:WORD_1
	v_sub_f16_sdwa v19, v9, v2 dst_sel:DWORD dst_unused:UNUSED_PAD src0_sel:WORD_1 src1_sel:WORD_1
	v_add_f16_e32 v27, v4, v38
	v_add_f16_sdwa v25, v4, v38 dst_sel:DWORD dst_unused:UNUSED_PAD src0_sel:WORD_1 src1_sel:WORD_1
	v_add_f16_e32 v43, v43, v10
	v_add_f16_sdwa v8, v8, v10 dst_sel:DWORD dst_unused:UNUSED_PAD src0_sel:DWORD src1_sel:WORD_1
	v_sub_f16_e32 v32, v38, v4
	v_sub_f16_sdwa v31, v38, v4 dst_sel:DWORD dst_unused:UNUSED_PAD src0_sel:WORD_1 src1_sel:WORD_1
	v_mul_f16_e32 v118, 0xbbf7, v36
	v_add_f16_e32 v43, v43, v11
	v_add_f16_sdwa v8, v8, v11 dst_sel:DWORD dst_unused:UNUSED_PAD src0_sel:DWORD src1_sel:WORD_1
	v_add_f16_e32 v38, v42, v46
	v_add_f16_e32 v46, v97, v77
	v_pk_add_f16 v37, v41, v96
	v_add_f16_e32 v43, v43, v2
	v_add_f16_sdwa v2, v8, v2 dst_sel:DWORD dst_unused:UNUSED_PAD src0_sel:DWORD src1_sel:WORD_1
	v_pk_add_f16 v41, v134, v162
	v_pk_add_f16 v0, v71, v0
	v_mul_f16_e32 v119, 0xb1e1, v35
	v_add_f16_e32 v43, v43, v3
	v_add_f16_sdwa v2, v2, v3 dst_sel:DWORD dst_unused:UNUSED_PAD src0_sel:DWORD src1_sel:WORD_1
	v_fmamk_f16 v158, v33, 0x2de8, v118
	v_fma_f16 v118, v33, 0x2de8, -v118
	v_add_f16_e32 v42, v68, v45
	v_add_f16_e32 v43, v43, v4
	v_add_f16_sdwa v2, v2, v4 dst_sel:DWORD dst_unused:UNUSED_PAD src0_sel:DWORD src1_sel:WORD_1
	v_add_f16_e32 v68, v90, v78
	v_add_f16_e32 v46, v111, v46
	v_mul_f16_e32 v120, 0xb1e1, v36
	v_add_f16_e32 v43, v43, v5
	v_add_f16_sdwa v2, v2, v5 dst_sel:DWORD dst_unused:UNUSED_PAD src0_sel:DWORD src1_sel:WORD_1
	v_pk_add_f16 v5, v164, v41
	v_pk_add_f16 v41, v75, v0
	v_fma_f16 v159, v34, 0xbbdd, -v119
	v_add_f16_e32 v0, v43, v6
	v_add_f16_sdwa v2, v2, v6 dst_sel:DWORD dst_unused:UNUSED_PAD src0_sel:DWORD src1_sel:WORD_1
	v_fmac_f16_e32 v119, 0xbbdd, v34
	v_add_f16_e32 v45, v48, v76
	v_add_f16_e32 v47, v89, v122
	;; [unrolled: 1-line block ×8, first 2 shown]
	v_add_f16_sdwa v2, v2, v7 dst_sel:DWORD dst_unused:UNUSED_PAD src0_sel:DWORD src1_sel:WORD_1
	v_mul_f16_e32 v46, 0x3bb2, v36
	v_mul_f16_e32 v117, 0xbbf7, v35
	;; [unrolled: 1-line block ×3, first 2 shown]
	v_fmamk_f16 v160, v33, 0xbbdd, v120
	v_fma_f16 v120, v33, 0xbbdd, -v120
	v_add_f16_e32 v48, v140, v123
	v_add_f16_e32 v77, v135, v124
	;; [unrolled: 1-line block ×8, first 2 shown]
	v_add_f16_sdwa v2, v2, v12 dst_sel:WORD_1 dst_unused:UNUSED_PAD src0_sel:DWORD src1_sel:WORD_1
	v_add_f16_e32 v12, v119, v68
	v_fmamk_f16 v68, v33, 0xb461, v46
	v_fma_f16 v46, v33, 0xb461, -v46
	v_fma_f16 v110, v34, 0x2de8, -v117
	v_fmac_f16_e32 v117, 0x2de8, v34
	v_fma_f16 v161, v34, 0xb461, -v121
	v_add_f16_e32 v81, v136, v125
	v_add_f16_e32 v82, v92, v82
	;; [unrolled: 1-line block ×13, first 2 shown]
	v_or_b32_sdwa v0, v2, v0 dst_sel:DWORD dst_unused:UNUSED_PAD src0_sel:DWORD src1_sel:WORD_0
	v_mul_f16_e32 v2, 0x35c8, v35
	v_fmac_f16_e32 v121, 0xb461, v34
	v_mul_f16_e32 v69, 0x35c8, v36
	v_add_f16_e32 v9, v46, v9
	v_mul_f16_e32 v46, 0xbb29, v35
	v_add_f16_e32 v1, v11, v10
	v_add_f16_sdwa v13, v11, v10 dst_sel:DWORD dst_unused:UNUSED_PAD src0_sel:WORD_1 src1_sel:WORD_1
	v_sub_f16_e32 v15, v10, v11
	v_sub_f16_sdwa v14, v10, v11 dst_sel:DWORD dst_unused:UNUSED_PAD src0_sel:WORD_1 src1_sel:WORD_1
	v_add_f16_e32 v89, v142, v130
	v_add_f16_e32 v91, v143, v131
	;; [unrolled: 1-line block ×7, first 2 shown]
	v_pk_add_f16 v37, v74, v37
	v_add_f16_e32 v6, v158, v42
	v_add_f16_e32 v42, v117, v45
	;; [unrolled: 1-line block ×5, first 2 shown]
	v_fma_f16 v70, v34, 0x3b76, -v2
	v_add_f16_e32 v71, v121, v72
	v_fmamk_f16 v72, v33, 0x3b76, v69
	v_fmac_f16_e32 v2, 0x3b76, v34
	v_fma_f16 v69, v33, 0x3b76, -v69
	v_fma_f16 v73, v34, 0x3722, -v46
	v_mul_f16_e32 v74, 0xbb29, v36
	v_add_f16_e32 v92, v138, v127
	v_add_f16_e32 v87, v102, v87
	;; [unrolled: 1-line block ×8, first 2 shown]
	v_mul_f16_e32 v73, 0xb836, v35
	v_fmamk_f16 v75, v33, 0x3722, v74
	v_mul_f16_e32 v76, 0xb836, v36
	v_add_f16_e32 v85, v101, v85
	v_add_f16_e32 v97, v145, v133
	;; [unrolled: 1-line block ×5, first 2 shown]
	v_fma_f16 v77, v34, 0xbacd, -v73
	v_add_f16_e32 v11, v75, v11
	v_fmamk_f16 v75, v33, 0xbacd, v76
	v_fma_f16 v76, v33, 0xbacd, -v76
	v_mul_f16_e32 v78, 0x3a62, v36
	v_pack_b32_f16 v36, v36, v34
	v_add_f16_e32 v88, v95, v88
	v_add_f16_e32 v81, v115, v85
	;; [unrolled: 1-line block ×3, first 2 shown]
	v_fma_f16 v74, v33, 0x3722, -v74
	v_add_f16_e32 v8, v77, v8
	v_mul_f16_e32 v77, 0x3a62, v35
	v_add_f16_e32 v3, v76, v3
	v_fmamk_f16 v76, v33, 0xb8d2, v78
	v_pack_b32_f16 v35, v33, v35
	v_pk_mul_f16 v36, 0x39e93964, v36
	v_fma_f16 v33, v33, 0xb8d2, -v78
	v_add_f16_e32 v4, v109, v88
	v_fmac_f16_e32 v46, 0x3722, v34
	v_fmac_f16_e32 v73, 0xbacd, v34
	v_fma_f16 v79, v34, 0xb8d2, -v77
	v_fmac_f16_e32 v77, 0xb8d2, v34
	v_add_f16_e32 v34, v76, v85
	v_pk_fma_f16 v76, 0x396439e9, v35, v36 neg_lo:[0,1,0] neg_hi:[0,1,0]
	v_pk_fma_f16 v78, 0x396439e9, v35, v36
	v_pk_fma_f16 v35, 0x396439e9, v35, v36 neg_lo:[0,0,1] neg_hi:[0,0,1]
	v_mul_f16_e32 v36, 0xbbb2, v31
	v_add_f16_e32 v33, v33, v44
	v_mul_f16_e32 v44, 0xbbb2, v32
	v_add_f16_e32 v38, v110, v38
	v_add_f16_e32 v4, v77, v4
	v_pk_add_f16 v37, v76, v37
	v_fma_f16 v76, v27, 0xb461, -v36
	v_pk_add_f16 v35, v35, v41
	v_mul_f16_e32 v41, 0x3836, v31
	v_fmamk_f16 v77, v25, 0xb461, v44
	v_fmac_f16_e32 v36, 0xb461, v27
	v_add_f16_e32 v38, v76, v38
	v_fma_f16 v44, v25, 0xb461, -v44
	v_fma_f16 v76, v27, 0xbacd, -v41
	v_add_f16_e32 v6, v77, v6
	v_mul_f16_e32 v77, 0x3836, v32
	v_add_f16_e32 v36, v36, v42
	v_add_f16_e32 v42, v44, v43
	;; [unrolled: 1-line block ×3, first 2 shown]
	v_mul_f16_e32 v43, 0x3964, v31
	v_fmamk_f16 v44, v25, 0xbacd, v77
	v_fma_f16 v76, v25, 0xbacd, -v77
	v_mul_f16_e32 v77, 0x3964, v32
	v_pk_add_f16 v5, v78, v5
	v_fmac_f16_e32 v41, 0xbacd, v27
	v_fma_f16 v78, v27, 0x39e9, -v43
	v_add_f16_e32 v44, v44, v45
	v_fmamk_f16 v45, v25, 0x39e9, v77
	v_fmac_f16_e32 v43, 0x39e9, v27
	v_add_f16_e32 v12, v41, v12
	v_add_f16_e32 v41, v76, v47
	v_add_f16_e32 v47, v78, v48
	v_mul_f16_e32 v48, 0xbb29, v31
	v_fma_f16 v76, v25, 0x39e9, -v77
	v_add_f16_e32 v45, v45, v68
	v_mul_f16_e32 v68, 0xbb29, v32
	v_add_f16_e32 v43, v43, v71
	v_fma_f16 v77, v27, 0x3722, -v48
	v_add_f16_e32 v9, v76, v9
	v_mul_f16_e32 v71, 0xb1e1, v31
	v_fmamk_f16 v76, v25, 0x3722, v68
	v_add_f16_e32 v84, v93, v84
	v_add_f16_e32 v93, v144, v132
	;; [unrolled: 1-line block ×3, first 2 shown]
	v_fmac_f16_e32 v48, 0x3722, v27
	v_fma_f16 v77, v27, 0xbbdd, -v71
	v_add_f16_e32 v72, v76, v72
	v_mul_f16_e32 v76, 0xb1e1, v32
	v_add_f16_e32 v80, v107, v84
	v_add_f16_e32 v82, v156, v93
	;; [unrolled: 1-line block ×4, first 2 shown]
	v_fmamk_f16 v69, v25, 0xbbdd, v76
	v_mul_f16_e32 v77, 0x3bf7, v32
	v_add_f16_e32 v86, v94, v86
	v_add_f16_e32 v46, v46, v80
	;; [unrolled: 1-line block ×4, first 2 shown]
	v_fma_f16 v68, v25, 0x3722, -v68
	v_fmac_f16_e32 v71, 0xbbdd, v27
	v_fma_f16 v76, v25, 0xbbdd, -v76
	v_add_f16_e32 v11, v69, v11
	v_fmamk_f16 v69, v25, 0x2de8, v77
	v_add_f16_e32 v83, v108, v86
	v_add_f16_e32 v10, v68, v10
	v_mul_f16_e32 v68, 0x3bf7, v31
	v_add_f16_e32 v46, v71, v46
	v_add_f16_e32 v71, v76, v74
	;; [unrolled: 1-line block ×3, first 2 shown]
	v_fma_f16 v75, v25, 0x2de8, -v77
	v_mul_f16_e32 v76, 0xb5c8, v32
	v_pack_b32_f16 v32, v32, v27
	v_add_f16_e32 v73, v73, v83
	v_fma_f16 v78, v27, 0x2de8, -v68
	v_fmac_f16_e32 v68, 0x2de8, v27
	v_mul_f16_e32 v74, 0xb5c8, v31
	v_add_f16_e32 v3, v75, v3
	v_fmamk_f16 v75, v25, 0x3b76, v76
	v_pack_b32_f16 v31, v25, v31
	v_pk_mul_f16 v32, 0xb8d2ba62, v32
	v_add_f16_e32 v68, v68, v73
	v_fma_f16 v73, v27, 0x3b76, -v74
	v_fmac_f16_e32 v74, 0x3b76, v27
	v_add_f16_e32 v27, v75, v34
	v_fma_f16 v25, v25, 0x3b76, -v76
	v_pk_fma_f16 v34, 0xba62b8d2, v31, v32 neg_lo:[0,1,0] neg_hi:[0,1,0]
	v_pk_fma_f16 v75, 0xba62b8d2, v31, v32
	v_pk_fma_f16 v31, 0xba62b8d2, v31, v32 neg_lo:[0,0,1] neg_hi:[0,0,1]
	v_mul_f16_e32 v32, 0xba62, v23
	v_add_f16_e32 v25, v25, v33
	v_pk_add_f16 v33, v34, v37
	v_mul_f16_e32 v34, 0xba62, v24
	v_add_f16_e32 v4, v74, v4
	v_fma_f16 v37, v22, 0xb8d2, -v32
	v_pk_add_f16 v31, v31, v35
	v_mul_f16_e32 v35, 0x3bb2, v23
	v_fmamk_f16 v74, v21, 0xb8d2, v34
	v_fmac_f16_e32 v32, 0xb8d2, v22
	v_add_f16_e32 v37, v37, v38
	v_fma_f16 v34, v21, 0xb8d2, -v34
	v_fma_f16 v38, v22, 0xb461, -v35
	v_add_f16_e32 v6, v74, v6
	v_mul_f16_e32 v74, 0x3bb2, v24
	v_add_f16_e32 v32, v32, v36
	v_add_f16_e32 v34, v34, v42
	;; [unrolled: 1-line block ×3, first 2 shown]
	v_mul_f16_e32 v36, 0xb5c8, v23
	v_fmamk_f16 v38, v21, 0xb461, v74
	v_fmac_f16_e32 v35, 0xb461, v22
	v_fma_f16 v42, v21, 0xb461, -v74
	v_mul_f16_e32 v74, 0xb5c8, v24
	v_pk_add_f16 v5, v75, v5
	v_fma_f16 v75, v22, 0x3b76, -v36
	v_add_f16_e32 v12, v35, v12
	v_add_f16_e32 v35, v42, v41
	v_fmamk_f16 v41, v21, 0x3b76, v74
	v_add_f16_e32 v38, v38, v44
	v_add_f16_e32 v42, v75, v47
	v_mul_f16_e32 v44, 0xb836, v23
	v_fmac_f16_e32 v36, 0x3b76, v22
	v_fma_f16 v47, v21, 0x3b76, -v74
	v_add_f16_e32 v41, v41, v45
	v_mul_f16_e32 v45, 0xb836, v24
	v_fma_f16 v74, v22, 0xbacd, -v44
	v_add_f16_e32 v36, v36, v43
	v_add_f16_e32 v9, v47, v9
	v_mul_f16_e32 v43, 0x3bf7, v23
	v_fmamk_f16 v47, v21, 0xbacd, v45
	v_add_f16_e32 v70, v74, v70
	v_fmac_f16_e32 v44, 0xbacd, v22
	v_fma_f16 v45, v21, 0xbacd, -v45
	v_fma_f16 v74, v22, 0x2de8, -v43
	v_add_f16_e32 v47, v47, v72
	v_mul_f16_e32 v72, 0x3bf7, v24
	v_add_f16_e32 v2, v44, v2
	v_fmac_f16_e32 v43, 0x2de8, v22
	v_add_f16_e32 v44, v74, v48
	v_mul_f16_e32 v74, 0xb964, v24
	v_fmamk_f16 v48, v21, 0x2de8, v72
	v_fma_f16 v72, v21, 0x2de8, -v72
	v_add_f16_e32 v10, v45, v10
	v_mul_f16_e32 v45, 0xb964, v23
	v_add_f16_e32 v43, v43, v46
	v_add_f16_e32 v11, v48, v11
	v_fmamk_f16 v48, v21, 0x39e9, v74
	v_add_f16_e32 v46, v72, v71
	v_fma_f16 v71, v21, 0x39e9, -v74
	v_mul_f16_e32 v72, 0xb1e1, v24
	v_pack_b32_f16 v24, v24, v22
	v_fma_f16 v75, v22, 0x39e9, -v45
	v_fmac_f16_e32 v45, 0x39e9, v22
	v_add_f16_e32 v48, v48, v69
	v_mul_f16_e32 v69, 0xb1e1, v23
	v_add_f16_e32 v3, v71, v3
	v_fmamk_f16 v71, v21, 0xbbdd, v72
	v_pack_b32_f16 v23, v21, v23
	v_pk_mul_f16 v24, 0x37223b29, v24
	v_add_f16_e32 v45, v45, v68
	v_fma_f16 v68, v22, 0xbbdd, -v69
	v_fmac_f16_e32 v69, 0xbbdd, v22
	v_add_f16_e32 v22, v71, v27
	v_fma_f16 v21, v21, 0xbbdd, -v72
	v_pk_fma_f16 v27, 0x3b293722, v23, v24 neg_lo:[0,1,0] neg_hi:[0,1,0]
	v_pk_fma_f16 v71, 0x3b293722, v23, v24
	v_pk_fma_f16 v23, 0x3b293722, v23, v24 neg_lo:[0,0,1] neg_hi:[0,0,1]
	v_mul_f16_e32 v24, 0xb836, v19
	v_add_f16_e32 v21, v21, v25
	v_pk_add_f16 v25, v27, v33
	v_mul_f16_e32 v27, 0xb836, v20
	v_add_f16_e32 v4, v69, v4
	v_fma_f16 v33, v18, 0xbacd, -v24
	v_pk_add_f16 v23, v23, v31
	v_mul_f16_e32 v31, 0x3b29, v19
	v_fmamk_f16 v69, v17, 0xbacd, v27
	v_fmac_f16_e32 v24, 0xbacd, v18
	v_add_f16_e32 v33, v33, v37
	v_fma_f16 v27, v17, 0xbacd, -v27
	v_fma_f16 v37, v18, 0x3722, -v31
	v_add_f16_e32 v6, v69, v6
	v_mul_f16_e32 v69, 0x3b29, v20
	v_add_f16_e32 v24, v24, v32
	v_add_f16_e32 v27, v27, v34
	v_add_f16_e32 v7, v37, v7
	v_mul_f16_e32 v32, 0xbbf7, v19
	v_fmamk_f16 v34, v17, 0x3722, v69
	v_fmac_f16_e32 v31, 0x3722, v18
	v_fma_f16 v37, v17, 0x3722, -v69
	v_mul_f16_e32 v69, 0xbbf7, v20
	v_pk_add_f16 v5, v71, v5
	v_fma_f16 v71, v18, 0x2de8, -v32
	v_add_f16_e32 v12, v31, v12
	v_add_f16_e32 v31, v37, v35
	v_fmamk_f16 v35, v17, 0x2de8, v69
	v_add_f16_e32 v34, v34, v38
	v_add_f16_e32 v37, v71, v42
	v_mul_f16_e32 v38, 0x3a62, v19
	v_fmac_f16_e32 v32, 0x2de8, v18
	v_fma_f16 v42, v17, 0x2de8, -v69
	v_add_f16_e32 v35, v35, v41
	v_mul_f16_e32 v41, 0x3a62, v20
	v_fma_f16 v69, v18, 0xb8d2, -v38
	v_add_f16_e32 v32, v32, v36
	v_add_f16_e32 v9, v42, v9
	v_mul_f16_e32 v36, 0xb5c8, v19
	v_fmamk_f16 v42, v17, 0xb8d2, v41
	v_add_f16_e32 v94, v139, v128
	v_add_f16_e32 v69, v69, v70
	v_fma_f16 v41, v17, 0xb8d2, -v41
	v_fma_f16 v70, v18, 0x3b76, -v36
	v_add_f16_e32 v47, v42, v47
	v_mul_f16_e32 v42, 0xb5c8, v20
	v_add_f16_e32 v84, v151, v94
	v_fmac_f16_e32 v38, 0xb8d2, v18
	v_add_f16_e32 v10, v41, v10
	v_add_f16_e32 v44, v70, v44
	v_fmamk_f16 v41, v17, 0x3b76, v42
	v_mul_f16_e32 v70, 0xb1e1, v20
	v_fmac_f16_e32 v36, 0x3b76, v18
	v_fma_f16 v42, v17, 0x3b76, -v42
	v_add_f16_e32 v79, v79, v84
	v_add_f16_e32 v2, v38, v2
	v_mul_f16_e32 v38, 0xb1e1, v19
	v_add_f16_e32 v11, v41, v11
	v_fmamk_f16 v41, v17, 0xbbdd, v70
	v_add_f16_e32 v36, v36, v43
	v_add_f16_e32 v46, v42, v46
	v_fma_f16 v42, v17, 0xbbdd, -v70
	v_mul_f16_e32 v43, 0x3964, v20
	v_pack_b32_f16 v20, v20, v18
	v_add_f16_e32 v73, v73, v79
	v_fma_f16 v71, v18, 0xbbdd, -v38
	v_fmac_f16_e32 v38, 0xbbdd, v18
	v_add_f16_e32 v48, v41, v48
	v_mul_f16_e32 v41, 0x3964, v19
	v_add_f16_e32 v3, v42, v3
	v_fmamk_f16 v42, v17, 0x39e9, v43
	v_pack_b32_f16 v19, v17, v19
	v_pk_mul_f16 v20, 0xb461bbb2, v20
	v_add_f16_e32 v68, v68, v73
	v_add_f16_e32 v45, v38, v45
	v_fma_f16 v38, v18, 0x39e9, -v41
	v_fmac_f16_e32 v41, 0x39e9, v18
	v_add_f16_e32 v18, v42, v22
	v_pk_fma_f16 v22, 0xbbb2b461, v19, v20 neg_lo:[0,1,0] neg_hi:[0,1,0]
	v_fma_f16 v17, v17, 0x39e9, -v43
	v_add_f16_e32 v68, v38, v68
	v_pk_fma_f16 v38, 0xbbb2b461, v19, v20
	v_mul_f16_e32 v42, 0xb1e1, v14
	v_pk_fma_f16 v19, 0xbbb2b461, v19, v20 neg_lo:[0,0,1] neg_hi:[0,0,1]
	v_pk_add_f16 v20, v22, v25
	v_mul_f16_e32 v22, 0xb1e1, v15
	v_add_f16_e32 v4, v41, v4
	v_add_f16_e32 v17, v17, v21
	v_fma_f16 v21, v1, 0xbbdd, -v42
	v_pk_add_f16 v19, v19, v23
	v_mul_f16_e32 v23, 0x35c8, v14
	v_fmamk_f16 v25, v13, 0xbbdd, v22
	v_fmac_f16_e32 v42, 0xbbdd, v1
	v_fma_f16 v22, v13, 0xbbdd, -v22
	v_mul_f16_e32 v41, 0x35c8, v15
	v_pk_add_f16 v5, v38, v5
	v_add_f16_e32 v21, v21, v33
	v_fma_f16 v33, v1, 0x3b76, -v23
	v_add_f16_e32 v6, v25, v6
	v_add_f16_e32 v38, v42, v24
	;; [unrolled: 1-line block ×3, first 2 shown]
	v_mul_f16_e32 v24, 0xb836, v14
	v_fmac_f16_e32 v23, 0x3b76, v1
	v_fma_f16 v25, v13, 0x3b76, -v41
	v_mul_f16_e32 v27, 0xb836, v15
	v_add_f16_e32 v7, v33, v7
	v_fmamk_f16 v22, v13, 0x3b76, v41
	v_fma_f16 v33, v1, 0xbacd, -v24
	v_add_f16_e32 v41, v23, v12
	v_add_f16_e32 v43, v25, v31
	v_mul_f16_e32 v23, 0x3964, v14
	v_fma_f16 v31, v13, 0xbacd, -v27
	v_add_f16_e32 v22, v22, v34
	v_add_f16_e32 v25, v33, v37
	v_fmac_f16_e32 v24, 0xbacd, v1
	v_fma_f16 v33, v1, 0x39e9, -v23
	v_mul_f16_e32 v34, 0x3964, v15
	v_add_f16_e32 v37, v31, v9
	v_mul_f16_e32 v9, 0xba62, v14
	v_add_f16_e32 v8, v78, v8
	v_fmamk_f16 v12, v13, 0xbacd, v27
	v_add_f16_e32 v27, v24, v32
	v_add_f16_e32 v24, v33, v69
	v_fmamk_f16 v31, v13, 0x39e9, v34
	v_fmac_f16_e32 v23, 0x39e9, v1
	v_fma_f16 v32, v13, 0x39e9, -v34
	v_fma_f16 v33, v1, 0xb8d2, -v9
	v_mul_f16_e32 v34, 0xba62, v15
	v_add_f16_e32 v8, v75, v8
	v_add_f16_e32 v2, v23, v2
	;; [unrolled: 1-line block ×4, first 2 shown]
	v_fmamk_f16 v32, v13, 0xb8d2, v34
	v_mul_f16_e32 v33, 0x3b29, v14
	v_add_f16_e32 v8, v71, v8
	v_add_f16_e32 v12, v12, v35
	v_fmac_f16_e32 v9, 0xb8d2, v1
	v_mul_f16_e32 v35, 0x3b29, v15
	v_add_f16_e32 v11, v32, v11
	v_fma_f16 v32, v1, 0x3722, -v33
	v_fmac_f16_e32 v33, 0x3722, v1
	v_add_f16_e32 v9, v9, v36
	v_fmamk_f16 v36, v13, 0x3722, v35
	v_fma_f16 v35, v13, 0x3722, -v35
	v_add_f16_e32 v8, v32, v8
	v_mul_f16_e32 v32, 0xbbb2, v14
	v_pack_b32_f16 v44, v15, v1
	v_add_f16_e32 v33, v33, v45
	v_mul_f16_e32 v15, 0xbbb2, v15
	v_add_f16_e32 v3, v35, v3
	v_fma_f16 v45, v1, 0xb461, -v32
	v_pack_b32_f16 v14, v13, v14
	v_pk_mul_f16 v35, 0x2de83bf7, v44
	v_fmac_f16_e32 v32, 0xb461, v1
	v_fma_f16 v1, v13, 0xb461, -v15
	v_add_f16_e32 v44, v45, v68
	v_fmamk_f16 v45, v13, 0xb461, v15
	v_pk_fma_f16 v15, 0x3bf72de8, v14, v35
	v_fma_f16 v34, v13, 0xb8d2, -v34
	v_pk_fma_f16 v13, 0x3bf72de8, v14, v35 neg_lo:[0,1,0] neg_hi:[0,1,0]
	v_add_f16_e32 v17, v1, v17
	v_pk_fma_f16 v14, 0x3bf72de8, v14, v35 neg_lo:[0,0,1] neg_hi:[0,0,1]
	v_pk_add_f16 v5, v15, v5
	v_mul_lo_u16 v15, v26, 17
	v_mov_b32_e32 v1, 2
	v_add_f16_e32 v31, v31, v47
	v_add_f16_e32 v36, v36, v48
	;; [unrolled: 1-line block ×3, first 2 shown]
	v_pk_add_f16 v13, v13, v20
	v_pack_b32_f16 v7, v7, v22
	v_pack_b32_f16 v6, v21, v6
	v_lshlrev_b32_sdwa v45, v1, v15 dst_sel:DWORD dst_unused:UNUSED_PAD src0_sel:DWORD src1_sel:WORD_0
	v_pk_add_f16 v14, v14, v19
	v_add_f16_e32 v4, v32, v4
	v_pack_b32_f16 v15, v24, v31
	v_pack_b32_f16 v12, v25, v12
	v_add_f16_e32 v34, v34, v46
	v_pack_b32_f16 v8, v8, v36
	v_pack_b32_f16 v11, v23, v11
	;; [unrolled: 1-line block ×3, first 2 shown]
	ds_write2_b32 v45, v6, v7 offset0:1 offset1:2
	ds_write2_b32 v45, v12, v15 offset0:3 offset1:4
	;; [unrolled: 1-line block ×3, first 2 shown]
	ds_write2_b32 v45, v0, v18 offset1:7
	v_alignbit_b32 v0, v14, v5, 16
	v_alignbit_b32 v5, v5, v13, 16
	v_pack_b32_f16 v3, v33, v3
	v_pack_b32_f16 v4, v4, v17
	;; [unrolled: 1-line block ×7, first 2 shown]
	ds_write2_b32 v45, v5, v0 offset0:8 offset1:9
	ds_write2_b32 v45, v4, v3 offset0:10 offset1:11
	;; [unrolled: 1-line block ×4, first 2 shown]
	ds_write_b32 v45, v9 offset:64
	v_add_nc_u32_e32 v0, 0x400, v49
	v_add_nc_u32_e32 v2, 0x800, v49
	;; [unrolled: 1-line block ×4, first 2 shown]
	s_waitcnt lgkmcnt(0)
	s_barrier
	buffer_gl0_inv
	ds_read2_b32 v[14:15], v0 offset0:33 offset1:152
	v_add_nc_u32_e32 v0, 0x1a00, v49
	ds_read2_b32 v[12:13], v49 offset1:119
	ds_read2_b32 v[24:25], v2 offset0:66 offset1:185
	ds_read2_b32 v[22:23], v3 offset0:99 offset1:218
	;; [unrolled: 1-line block ×5, first 2 shown]
                                        ; implicit-def: $vgpr26
                                        ; implicit-def: $vgpr48
                                        ; implicit-def: $vgpr44
                                        ; implicit-def: $vgpr72
                                        ; implicit-def: $vgpr47
                                        ; implicit-def: $vgpr73
                                        ; implicit-def: $vgpr46
                                        ; implicit-def: $vgpr74
	s_and_saveexec_b32 s0, vcc_lo
	s_cbranch_execz .LBB0_3
; %bb.2:
	ds_read_b32 v27, v49 offset:952
	ds_read_b32 v41, v49 offset:2108
	;; [unrolled: 1-line block ×7, first 2 shown]
	s_waitcnt lgkmcnt(6)
	v_lshrrev_b32_e32 v37, 16, v27
	s_waitcnt lgkmcnt(5)
	v_lshrrev_b32_e32 v43, 16, v41
	;; [unrolled: 2-line block ×7, first 2 shown]
.LBB0_3:
	s_or_b32 exec_lo, exec_lo, s0
	v_add_nc_u16 v0, v65, 0xee
	v_mov_b32_e32 v2, 0xf0f1
	v_and_b32_e32 v3, 0xff, v65
	v_add_nc_u16 v5, v65, 0x77
	v_mov_b32_e32 v82, 0x77
	s_waitcnt lgkmcnt(6)
	v_lshrrev_b32_e32 v77, 16, v14
	v_mul_u32_u24_sdwa v2, v0, v2 dst_sel:DWORD dst_unused:UNUSED_PAD src0_sel:WORD_0 src1_sel:DWORD
	s_waitcnt lgkmcnt(4)
	v_lshrrev_b32_e32 v78, 16, v24
	v_and_b32_e32 v7, 0xff, v5
	s_waitcnt lgkmcnt(3)
	v_lshrrev_b32_e32 v79, 16, v22
	s_waitcnt lgkmcnt(2)
	v_lshrrev_b32_e32 v80, 16, v20
	v_lshrrev_b32_e32 v68, 20, v2
	v_mul_lo_u16 v2, 0xf1, v3
	s_waitcnt lgkmcnt(1)
	v_lshrrev_b32_e32 v81, 16, v18
	s_waitcnt lgkmcnt(0)
	v_lshrrev_b32_e32 v83, 16, v16
	v_lshrrev_b32_e32 v85, 16, v25
	v_mul_lo_u16 v3, v68, 17
	v_lshrrev_b16 v70, 12, v2
	v_lshrrev_b32_e32 v84, 16, v15
	v_lshrrev_b32_e32 v86, 16, v23
	;; [unrolled: 1-line block ×3, first 2 shown]
	v_sub_nc_u16 v69, v0, v3
	v_mul_lo_u16 v0, v70, 17
	v_mul_u32_u24_sdwa v70, v70, v82 dst_sel:DWORD dst_unused:UNUSED_PAD src0_sel:WORD_0 src1_sel:DWORD
	v_lshrrev_b32_e32 v88, 16, v17
	v_mul_lo_u16 v2, v69, 6
	v_sub_nc_u16 v0, v65, v0
	v_lshlrev_b32_sdwa v4, v1, v2 dst_sel:DWORD dst_unused:UNUSED_PAD src0_sel:DWORD src1_sel:WORD_0
	v_and_b32_e32 v71, 0xff, v0
	global_load_dwordx4 v[0:3], v4, s[2:3]
	v_mul_u32_u24_e32 v6, 6, v71
	v_add_lshl_u32 v71, v70, v71, 2
	v_lshlrev_b32_e32 v6, 2, v6
	s_clause 0x1
	global_load_dwordx2 v[31:32], v4, s[2:3] offset:16
	global_load_dwordx4 v[8:11], v6, s[2:3]
	v_mul_lo_u16 v4, 0xf1, v7
	global_load_dwordx2 v[35:36], v6, s[2:3] offset:16
	v_lshrrev_b16 v75, 12, v4
	v_mul_lo_u16 v4, v75, 17
	v_mul_u32_u24_sdwa v75, v75, v82 dst_sel:DWORD dst_unused:UNUSED_PAD src0_sel:WORD_0 src1_sel:DWORD
	v_lshrrev_b32_e32 v82, 16, v21
	v_sub_nc_u16 v4, v5, v4
	v_and_b32_e32 v76, 0xff, v4
	v_mul_u32_u24_e32 v4, 6, v76
	v_add_lshl_u32 v70, v75, v76, 2
	v_lshlrev_b32_e32 v33, 2, v4
	s_clause 0x1
	global_load_dwordx4 v[4:7], v33, s[2:3]
	global_load_dwordx2 v[33:34], v33, s[2:3] offset:16
	s_waitcnt vmcnt(0)
	s_barrier
	buffer_gl0_inv
	v_mul_f16_sdwa v75, v43, v0 dst_sel:DWORD dst_unused:UNUSED_PAD src0_sel:DWORD src1_sel:WORD_1
	v_mul_f16_sdwa v76, v41, v0 dst_sel:DWORD dst_unused:UNUSED_PAD src0_sel:DWORD src1_sel:WORD_1
	;; [unrolled: 1-line block ×8, first 2 shown]
	v_fma_f16 v41, v41, v0, -v75
	v_mul_f16_sdwa v95, v72, v31 dst_sel:DWORD dst_unused:UNUSED_PAD src0_sel:DWORD src1_sel:WORD_1
	v_mul_f16_sdwa v96, v44, v31 dst_sel:DWORD dst_unused:UNUSED_PAD src0_sel:DWORD src1_sel:WORD_1
	;; [unrolled: 1-line block ×16, first 2 shown]
	v_fmac_f16_e32 v76, v43, v0
	v_fma_f16 v38, v38, v1, -v89
	v_fmac_f16_e32 v90, v42, v1
	v_fma_f16 v26, v26, v2, -v91
	;; [unrolled: 2-line block ×5, first 2 shown]
	v_fmac_f16_e32 v98, v73, v32
	v_fmac_f16_e32 v100, v77, v8
	;; [unrolled: 1-line block ×5, first 2 shown]
	v_fma_f16 v14, v14, v8, -v99
	v_fma_f16 v24, v24, v9, -v101
	;; [unrolled: 1-line block ×3, first 2 shown]
	v_fmac_f16_e32 v104, v79, v10
	v_fma_f16 v20, v20, v11, -v105
	v_mul_f16_sdwa v48, v85, v5 dst_sel:DWORD dst_unused:UNUSED_PAD src0_sel:DWORD src1_sel:WORD_1
	v_mul_f16_sdwa v75, v82, v7 dst_sel:DWORD dst_unused:UNUSED_PAD src0_sel:DWORD src1_sel:WORD_1
	v_fmac_f16_e32 v106, v80, v11
	v_fma_f16 v18, v18, v35, -v107
	v_fma_f16 v16, v16, v36, -v109
	v_mul_f16_sdwa v46, v84, v4 dst_sel:DWORD dst_unused:UNUSED_PAD src0_sel:DWORD src1_sel:WORD_1
	v_mul_f16_sdwa v47, v15, v4 dst_sel:DWORD dst_unused:UNUSED_PAD src0_sel:DWORD src1_sel:WORD_1
	;; [unrolled: 1-line block ×10, first 2 shown]
	v_add_f16_e32 v83, v41, v44
	v_add_f16_e32 v89, v76, v98
	v_sub_f16_e32 v41, v41, v44
	v_sub_f16_e32 v44, v76, v98
	v_add_f16_e32 v76, v38, v43
	v_add_f16_e32 v91, v90, v96
	v_sub_f16_e32 v38, v38, v43
	v_sub_f16_e32 v43, v90, v96
	;; [unrolled: 4-line block ×3, first 2 shown]
	v_fma_f16 v25, v25, v5, -v48
	v_fma_f16 v21, v21, v7, -v75
	v_add_f16_e32 v48, v100, v110
	v_add_f16_e32 v75, v102, v108
	v_fma_f16 v15, v15, v4, -v46
	v_fmac_f16_e32 v47, v84, v4
	v_fmac_f16_e32 v72, v85, v5
	v_fma_f16 v23, v23, v6, -v73
	v_fma_f16 v19, v19, v33, -v78
	v_fmac_f16_e32 v79, v87, v33
	v_fma_f16 v17, v17, v34, -v80
	v_fmac_f16_e32 v81, v88, v34
	v_add_f16_e32 v46, v14, v16
	v_sub_f16_e32 v14, v14, v16
	v_add_f16_e32 v73, v24, v18
	v_sub_f16_e32 v18, v24, v18
	v_sub_f16_e32 v24, v102, v108
	v_add_f16_e32 v78, v22, v20
	v_sub_f16_e32 v20, v20, v22
	v_sub_f16_e32 v22, v106, v104
	v_fmac_f16_e32 v74, v86, v6
	v_fmac_f16_e32 v77, v82, v7
	v_add_f16_e32 v80, v104, v106
	v_add_f16_e32 v82, v76, v83
	v_add_f16_e32 v84, v91, v89
	v_sub_f16_e32 v86, v91, v89
	v_sub_f16_e32 v87, v89, v93
	v_sub_f16_e32 v88, v93, v91
	v_add_f16_e32 v89, v26, v38
	v_add_f16_e32 v91, v42, v43
	v_sub_f16_e32 v92, v26, v38
	v_sub_f16_e32 v94, v42, v43
	;; [unrolled: 1-line block ×4, first 2 shown]
	v_add_f16_e32 v96, v75, v48
	v_sub_f16_e32 v16, v100, v110
	v_add_f16_e32 v99, v20, v18
	v_sub_f16_e32 v101, v20, v18
	v_sub_f16_e32 v102, v22, v24
	;; [unrolled: 1-line block ×3, first 2 shown]
	v_add_f16_e32 v18, v15, v17
	v_add_f16_e32 v104, v47, v81
	v_sub_f16_e32 v105, v15, v17
	v_add_f16_e32 v15, v25, v19
	v_add_f16_e32 v17, v72, v79
	v_sub_f16_e32 v85, v76, v83
	v_sub_f16_e32 v83, v83, v90
	;; [unrolled: 1-line block ×5, first 2 shown]
	v_add_f16_e32 v95, v73, v46
	v_sub_f16_e32 v98, v75, v48
	v_sub_f16_e32 v48, v48, v80
	;; [unrolled: 1-line block ×3, first 2 shown]
	v_add_f16_e32 v100, v22, v24
	v_sub_f16_e32 v19, v25, v19
	v_sub_f16_e32 v25, v72, v79
	v_add_f16_e32 v72, v23, v21
	v_add_f16_e32 v79, v74, v77
	v_sub_f16_e32 v21, v21, v23
	v_sub_f16_e32 v23, v77, v74
	v_add_f16_e32 v74, v90, v82
	v_add_f16_e32 v77, v93, v84
	;; [unrolled: 1-line block ×4, first 2 shown]
	v_mul_f16_e32 v82, 0x3a52, v87
	v_mul_f16_e32 v87, 0xb846, v92
	;; [unrolled: 1-line block ×5, first 2 shown]
	v_add_f16_e32 v80, v80, v96
	v_sub_f16_e32 v97, v73, v46
	v_sub_f16_e32 v46, v46, v78
	;; [unrolled: 1-line block ×5, first 2 shown]
	v_add_f16_e32 v92, v99, v14
	v_mul_f16_e32 v99, 0xb846, v102
	v_add_f16_e32 v102, v15, v18
	v_add_f16_e32 v106, v17, v104
	v_sub_f16_e32 v22, v16, v22
	v_mul_f16_e32 v81, 0x3a52, v83
	v_mul_f16_e32 v83, 0x2b26, v76
	;; [unrolled: 1-line block ×3, first 2 shown]
	v_add_f16_e32 v78, v78, v95
	v_add_f16_e32 v93, v100, v16
	v_sub_f16_e32 v107, v15, v18
	v_sub_f16_e32 v108, v17, v104
	;; [unrolled: 1-line block ×5, first 2 shown]
	v_add_f16_e32 v112, v21, v19
	v_sub_f16_e32 v114, v21, v19
	v_sub_f16_e32 v116, v19, v105
	v_add_f16_e32 v15, v37, v77
	v_fmamk_f16 v16, v26, 0x3574, v87
	v_fmamk_f16 v17, v42, 0x3574, v89
	v_fma_f16 v38, v38, 0x3b00, -v87
	v_fma_f16 v19, v26, 0xb574, -v90
	;; [unrolled: 1-line block ×3, first 2 shown]
	v_add_f16_sdwa v42, v80, v12 dst_sel:DWORD dst_unused:UNUSED_PAD src0_sel:DWORD src1_sel:WORD_1
	v_sub_f16_e32 v20, v14, v20
	v_mul_f16_e32 v46, 0x3a52, v46
	v_mul_f16_e32 v48, 0x3a52, v48
	;; [unrolled: 1-line block ×7, first 2 shown]
	v_sub_f16_e32 v104, v104, v79
	v_add_f16_e32 v113, v23, v25
	v_sub_f16_e32 v115, v23, v25
	v_sub_f16_e32 v25, v25, v47
	v_add_f16_e32 v14, v27, v74
	v_fma_f16 v43, v43, 0x3b00, -v89
	v_add_f16_e32 v72, v72, v102
	v_add_f16_e32 v79, v79, v106
	v_fmamk_f16 v27, v76, 0x2b26, v81
	v_fmamk_f16 v37, v88, 0x2b26, v82
	v_fma_f16 v76, v85, 0x39e0, -v83
	v_fma_f16 v83, v86, 0x39e0, -v84
	v_add_f16_e32 v26, v78, v12
	v_fmamk_f16 v77, v77, 0xbcab, v15
	v_fmac_f16_e32 v16, 0x370e, v41
	v_fmac_f16_e32 v38, 0x370e, v41
	;; [unrolled: 1-line block ×3, first 2 shown]
	v_lshlrev_b32_e32 v41, 16, v42
	v_sub_f16_e32 v21, v105, v21
	v_sub_f16_e32 v23, v47, v23
	v_fma_f16 v81, v85, 0xb9e0, -v81
	v_fma_f16 v82, v86, 0xb9e0, -v82
	v_fmamk_f16 v84, v73, 0x2b26, v46
	v_fmamk_f16 v73, v75, 0x2b26, v48
	v_fma_f16 v85, v97, 0x39e0, -v94
	v_fma_f16 v75, v98, 0x39e0, -v95
	;; [unrolled: 1-line block ×4, first 2 shown]
	v_fmamk_f16 v86, v20, 0x3574, v96
	v_fmamk_f16 v87, v22, 0x3574, v99
	v_fma_f16 v88, v103, 0x3b00, -v96
	v_fma_f16 v24, v24, 0x3b00, -v99
	;; [unrolled: 1-line block ×4, first 2 shown]
	v_mul_f16_e32 v12, 0x3a52, v109
	v_mul_f16_e32 v20, 0x3a52, v104
	;; [unrolled: 1-line block ×6, first 2 shown]
	v_fmamk_f16 v74, v74, 0xbcab, v14
	v_fmac_f16_e32 v17, 0x370e, v44
	v_fmac_f16_e32 v43, 0x370e, v44
	v_fmac_f16_e32 v18, 0x370e, v44
	v_fmac_f16_e32 v42, 0xbcab, v80
	v_add_f16_e32 v44, v13, v72
	v_add_f16_sdwa v80, v13, v79 dst_sel:DWORD dst_unused:UNUSED_PAD src0_sel:WORD_1 src1_sel:DWORD
	v_mul_f16_e32 v91, 0x2b26, v110
	v_mul_f16_e32 v94, 0x2b26, v111
	v_add_f16_e32 v13, v37, v77
	v_add_f16_e32 v37, v83, v77
	v_or_b32_sdwa v41, v41, v26 dst_sel:DWORD dst_unused:UNUSED_PAD src0_sel:DWORD src1_sel:WORD_0
	v_fmac_f16_e32 v26, 0xbcab, v78
	v_add_f16_e32 v90, v112, v105
	v_add_f16_e32 v47, v113, v47
	v_fmac_f16_e32 v86, 0x370e, v92
	v_fmac_f16_e32 v87, 0x370e, v93
	;; [unrolled: 1-line block ×6, first 2 shown]
	v_fmamk_f16 v92, v110, 0x2b26, v12
	v_fmamk_f16 v93, v111, 0x2b26, v20
	v_fma_f16 v99, v107, 0xb9e0, -v12
	v_fma_f16 v100, v108, 0xb9e0, -v20
	v_fmamk_f16 v101, v21, 0x3574, v95
	v_fmamk_f16 v102, v23, 0x3574, v96
	v_fma_f16 v25, v25, 0x3b00, -v96
	v_fma_f16 v96, v21, 0xb574, -v97
	;; [unrolled: 1-line block ×3, first 2 shown]
	v_add_f16_e32 v12, v27, v74
	v_add_f16_e32 v27, v76, v74
	;; [unrolled: 1-line block ×7, first 2 shown]
	v_fmamk_f16 v48, v72, 0xbcab, v44
	v_fmamk_f16 v83, v79, 0xbcab, v80
	v_fma_f16 v91, v107, 0x39e0, -v91
	v_fma_f16 v94, v108, 0x39e0, -v94
	v_fma_f16 v95, v116, 0x3b00, -v95
	v_add_f16_e32 v74, v38, v37
	v_sub_f16_e32 v75, v37, v38
	v_add_f16_e32 v37, v84, v26
	v_add_f16_e32 v38, v85, v26
	;; [unrolled: 1-line block ×3, first 2 shown]
	v_fmac_f16_e32 v101, 0x370e, v90
	v_fmac_f16_e32 v102, 0x370e, v47
	;; [unrolled: 1-line block ×4, first 2 shown]
	v_sub_f16_e32 v72, v27, v43
	v_add_f16_e32 v73, v43, v27
	v_pack_b32_f16 v27, v44, v80
	v_sub_f16_e32 v43, v81, v86
	v_add_f16_e32 v46, v88, v82
	v_sub_f16_e32 v47, v82, v88
	v_add_f16_e32 v80, v86, v81
	v_add_f16_e32 v81, v92, v48
	;; [unrolled: 1-line block ×3, first 2 shown]
	v_fmac_f16_e32 v95, 0x370e, v90
	v_fmac_f16_e32 v96, 0x370e, v90
	v_add_f16_e32 v84, v91, v48
	v_add_f16_e32 v85, v94, v83
	v_add_f16_e32 v48, v99, v48
	v_add_f16_e32 v83, v100, v83
	v_add_f16_e32 v86, v87, v37
	v_sub_f16_e32 v44, v42, v89
	v_add_f16_e32 v42, v89, v42
	v_add_f16_e32 v88, v22, v26
	v_sub_f16_e32 v89, v38, v24
	v_add_f16_e32 v24, v24, v38
	v_sub_f16_e32 v22, v26, v22
	v_sub_f16_e32 v26, v37, v87
	v_add_f16_e32 v37, v102, v81
	v_sub_f16_e32 v38, v82, v101
	;; [unrolled: 3-line block ×3, first 2 shown]
	v_add_f16_e32 v79, v16, v13
	v_add_f16_e32 v87, v23, v48
	v_sub_f16_e32 v90, v83, v96
	v_sub_f16_e32 v91, v84, v25
	v_add_f16_e32 v92, v95, v85
	v_add_f16_e32 v25, v25, v84
	v_sub_f16_e32 v84, v85, v95
	v_sub_f16_e32 v23, v48, v23
	v_add_f16_e32 v48, v96, v83
	v_sub_f16_e32 v81, v81, v102
	v_add_f16_e32 v82, v101, v82
	v_pack_b32_f16 v43, v86, v43
	v_pack_b32_f16 v44, v88, v44
	;; [unrolled: 1-line block ×12, first 2 shown]
	ds_write2_b32 v71, v41, v43 offset1:17
	ds_write2_b32 v71, v44, v46 offset0:34 offset1:51
	ds_write2_b32 v71, v24, v22 offset0:68 offset1:85
	ds_write_b32 v71, v26 offset:408
	ds_write2_b32 v70, v27, v37 offset1:17
	ds_write2_b32 v70, v38, v42 offset0:34 offset1:51
	ds_write2_b32 v70, v25, v23 offset0:68 offset1:85
	ds_write_b32 v70, v47 offset:408
	s_and_saveexec_b32 s0, vcc_lo
	s_cbranch_execz .LBB0_5
; %bb.4:
	v_sub_f16_e32 v19, v21, v19
	v_mad_u16 v21, 0x77, v68, v69
	v_mov_b32_e32 v22, 2
	v_sub_f16_e32 v13, v13, v16
	v_add_f16_e32 v12, v17, v12
	v_add_f16_e32 v16, v18, v20
	v_perm_b32 v14, v15, v14, 0x5040100
	v_lshlrev_b32_sdwa v17, v22, v21 dst_sel:DWORD dst_unused:UNUSED_PAD src0_sel:DWORD src1_sel:WORD_0
	v_perm_b32 v15, v74, v72, 0x5040100
	v_pack_b32_f16 v12, v12, v13
	v_pack_b32_f16 v13, v16, v19
	v_perm_b32 v16, v75, v73, 0x5040100
	v_perm_b32 v18, v77, v76, 0x5040100
	;; [unrolled: 1-line block ×3, first 2 shown]
	ds_write2_b32 v17, v14, v12 offset1:17
	ds_write2_b32 v17, v13, v15 offset0:34 offset1:51
	ds_write2_b32 v17, v16, v18 offset0:68 offset1:85
	ds_write_b32 v17, v19 offset:408
.LBB0_5:
	s_or_b32 exec_lo, exec_lo, s0
	v_lshlrev_b32_e32 v12, 6, v65
	s_waitcnt lgkmcnt(0)
	s_barrier
	buffer_gl0_inv
	v_add_nc_u32_e32 v42, 0x600, v49
	s_clause 0x3
	global_load_dwordx4 v[24:27], v12, s[2:3] offset:408
	global_load_dwordx4 v[20:23], v12, s[2:3] offset:424
	;; [unrolled: 1-line block ×4, first 2 shown]
	ds_read2_b32 v[37:38], v49 offset1:119
	v_add_nc_u32_e32 v44, 0xa00, v49
	v_add_nc_u32_e32 v47, 0xe00, v49
	;; [unrolled: 1-line block ×6, first 2 shown]
	ds_read_b32 v115, v49 offset:7616
	ds_read2_b32 v[85:86], v41 offset0:110 offset1:229
	ds_read2_b32 v[89:90], v42 offset0:92 offset1:211
	;; [unrolled: 1-line block ×7, first 2 shown]
	s_waitcnt lgkmcnt(8)
	v_lshrrev_b32_e32 v82, 16, v38
	s_waitcnt lgkmcnt(7)
	v_lshrrev_b32_e32 v116, 16, v115
	;; [unrolled: 2-line block ×3, first 2 shown]
	v_lshrrev_b32_e32 v94, 16, v86
	s_waitcnt lgkmcnt(4)
	v_lshrrev_b32_e32 v120, 16, v100
	s_waitcnt lgkmcnt(3)
	v_lshrrev_b32_e32 v121, 16, v101
	s_waitcnt lgkmcnt(0)
	v_lshrrev_b32_e32 v127, 16, v113
	v_lshrrev_b32_e32 v128, 16, v114
	;; [unrolled: 1-line block ×10, first 2 shown]
	s_waitcnt vmcnt(3)
	v_mul_f16_sdwa v104, v82, v24 dst_sel:DWORD dst_unused:UNUSED_PAD src0_sel:DWORD src1_sel:WORD_1
	v_mul_f16_sdwa v129, v38, v24 dst_sel:DWORD dst_unused:UNUSED_PAD src0_sel:DWORD src1_sel:WORD_1
	;; [unrolled: 1-line block ×4, first 2 shown]
	s_waitcnt vmcnt(2)
	v_mul_f16_sdwa v134, v120, v22 dst_sel:DWORD dst_unused:UNUSED_PAD src0_sel:DWORD src1_sel:WORD_1
	v_mul_f16_sdwa v135, v121, v23 dst_sel:DWORD dst_unused:UNUSED_PAD src0_sel:DWORD src1_sel:WORD_1
	s_waitcnt vmcnt(0)
	v_mul_f16_sdwa v141, v127, v13 dst_sel:DWORD dst_unused:UNUSED_PAD src0_sel:DWORD src1_sel:WORD_1
	v_mul_f16_sdwa v142, v128, v14 dst_sel:DWORD dst_unused:UNUSED_PAD src0_sel:DWORD src1_sel:WORD_1
	;; [unrolled: 1-line block ×3, first 2 shown]
	v_fma_f16 v144, v38, v24, -v104
	v_fmac_f16_e32 v129, v82, v24
	v_mul_f16_sdwa v130, v94, v26 dst_sel:DWORD dst_unused:UNUSED_PAD src0_sel:DWORD src1_sel:WORD_1
	v_mul_f16_sdwa v105, v86, v26 dst_sel:DWORD dst_unused:UNUSED_PAD src0_sel:DWORD src1_sel:WORD_1
	;; [unrolled: 1-line block ×10, first 2 shown]
	v_fma_f16 v110, v85, v25, -v106
	v_fmac_f16_e32 v109, v93, v25
	v_fma_f16 v85, v100, v22, -v134
	v_fma_f16 v38, v101, v23, -v135
	v_fma_f16 v101, v113, v13, -v141
	v_fma_f16 v100, v114, v14, -v142
	v_fmac_f16_e32 v97, v128, v14
	v_add_f16_e32 v113, v144, v37
	v_add_f16_sdwa v114, v129, v37 dst_sel:DWORD dst_unused:UNUSED_PAD src0_sel:DWORD src1_sel:WORD_1
	v_mul_f16_sdwa v131, v117, v27 dst_sel:DWORD dst_unused:UNUSED_PAD src0_sel:DWORD src1_sel:WORD_1
	v_mul_f16_sdwa v132, v118, v20 dst_sel:DWORD dst_unused:UNUSED_PAD src0_sel:DWORD src1_sel:WORD_1
	;; [unrolled: 1-line block ×6, first 2 shown]
	v_fma_f16 v106, v86, v26, -v130
	v_fmac_f16_e32 v105, v94, v26
	v_fmac_f16_e32 v103, v117, v27
	;; [unrolled: 1-line block ×3, first 2 shown]
	v_fma_f16 v82, v102, v16, -v136
	v_fma_f16 v94, v111, v19, -v139
	;; [unrolled: 1-line block ×3, first 2 shown]
	v_fmac_f16_e32 v96, v127, v13
	v_add_f16_e32 v111, v110, v100
	v_add_f16_e32 v112, v109, v97
	v_sub_f16_e32 v117, v110, v100
	v_sub_f16_e32 v118, v109, v97
	v_add_f16_e32 v110, v113, v110
	v_add_f16_e32 v109, v114, v109
	v_mul_f16_sdwa v133, v119, v21 dst_sel:DWORD dst_unused:UNUSED_PAD src0_sel:DWORD src1_sel:WORD_1
	v_mul_f16_sdwa v84, v107, v17 dst_sel:DWORD dst_unused:UNUSED_PAD src0_sel:DWORD src1_sel:WORD_1
	;; [unrolled: 1-line block ×3, first 2 shown]
	v_fma_f16 v104, v89, v27, -v131
	v_fmac_f16_e32 v87, v119, v21
	v_fmac_f16_e32 v83, v120, v22
	;; [unrolled: 1-line block ×5, first 2 shown]
	v_add_f16_e32 v119, v106, v101
	v_sub_f16_e32 v120, v105, v96
	v_sub_f16_e32 v121, v106, v101
	v_add_f16_e32 v122, v105, v96
	v_add_f16_e32 v106, v110, v106
	;; [unrolled: 1-line block ×3, first 2 shown]
	v_mul_f16_sdwa v137, v123, v17 dst_sel:DWORD dst_unused:UNUSED_PAD src0_sel:DWORD src1_sel:WORD_1
	v_mul_f16_sdwa v138, v124, v18 dst_sel:DWORD dst_unused:UNUSED_PAD src0_sel:DWORD src1_sel:WORD_1
	v_fma_f16 v93, v90, v20, -v132
	v_fmac_f16_e32 v84, v123, v17
	v_fmac_f16_e32 v88, v124, v18
	v_fmac_f16_e32 v92, v125, v19
	v_add_f16_e32 v123, v104, v102
	v_sub_f16_e32 v124, v103, v95
	v_sub_f16_e32 v125, v104, v102
	v_add_f16_e32 v126, v103, v95
	v_add_f16_e32 v104, v106, v104
	;; [unrolled: 1-line block ×3, first 2 shown]
	v_fma_f16 v89, v99, v21, -v133
	v_mul_f16_sdwa v143, v116, v15 dst_sel:DWORD dst_unused:UNUSED_PAD src0_sel:DWORD src1_sel:WORD_1
	v_mul_f16_sdwa v98, v115, v15 dst_sel:DWORD dst_unused:UNUSED_PAD src0_sel:DWORD src1_sel:WORD_1
	v_add_f16_e32 v104, v104, v93
	v_add_f16_e32 v103, v103, v91
	v_fma_f16 v86, v107, v17, -v137
	v_fma_f16 v99, v115, v15, -v143
	v_fmac_f16_e32 v98, v116, v15
	v_add_f16_e32 v104, v104, v89
	v_add_f16_e32 v103, v103, v87
	v_fma_f16 v90, v108, v18, -v138
	v_sub_f16_e32 v115, v144, v99
	v_sub_f16_e32 v116, v129, v98
	v_add_f16_e32 v104, v104, v85
	v_add_f16_e32 v103, v103, v83
	;; [unrolled: 1-line block ×4, first 2 shown]
	v_mul_f16_e32 v113, 0xb5c8, v116
	v_add_f16_e32 v104, v104, v38
	v_add_f16_e32 v103, v103, v48
	v_mul_f16_e32 v114, 0xb5c8, v115
	v_mul_f16_e32 v127, 0xb964, v116
	v_mul_f16_e32 v128, 0xb964, v115
	v_add_f16_e32 v104, v104, v82
	v_add_f16_e32 v103, v103, v81
	v_mul_f16_e32 v129, 0xbb29, v116
	v_mul_f16_e32 v130, 0xbb29, v115
	;; [unrolled: 5-line block ×3, first 2 shown]
	v_mul_f16_e32 v134, 0xbbb2, v115
	v_mul_f16_e32 v135, 0xba62, v116
	;; [unrolled: 1-line block ×7, first 2 shown]
	v_add_f16_e32 v104, v104, v90
	v_add_f16_e32 v103, v103, v88
	v_mul_f16_e32 v139, 0xb964, v118
	v_mul_f16_e32 v140, 0xb964, v117
	;; [unrolled: 1-line block ×16, first 2 shown]
	v_fma_f16 v173, v107, 0x3b76, -v113
	v_fmamk_f16 v174, v108, 0x3b76, v114
	v_fmac_f16_e32 v113, 0x3b76, v107
	v_fma_f16 v114, v108, 0x3b76, -v114
	v_fma_f16 v175, v107, 0x39e9, -v127
	v_fmamk_f16 v176, v108, 0x39e9, v128
	v_fmac_f16_e32 v127, 0x39e9, v107
	v_fma_f16 v128, v108, 0x39e9, -v128
	;; [unrolled: 4-line block ×8, first 2 shown]
	v_add_f16_e32 v104, v104, v94
	v_add_f16_e32 v103, v103, v92
	v_mul_f16_e32 v153, 0xbb29, v120
	v_mul_f16_e32 v154, 0xba62, v120
	;; [unrolled: 1-line block ×16, first 2 shown]
	v_fma_f16 v108, v111, 0x39e9, -v139
	v_fmamk_f16 v115, v112, 0x39e9, v140
	v_fmac_f16_e32 v139, 0x39e9, v111
	v_fma_f16 v140, v112, 0x39e9, -v140
	v_fma_f16 v189, v111, 0x2de8, -v141
	v_fmamk_f16 v190, v112, 0x2de8, v142
	v_fmac_f16_e32 v141, 0x2de8, v111
	v_fma_f16 v191, v111, 0xb8d2, -v143
	v_fmac_f16_e32 v143, 0xb8d2, v111
	v_fma_f16 v193, v111, 0xbbdd, -v145
	;; [unrolled: 2-line block ×7, first 2 shown]
	v_add_f16_e32 v173, v173, v37
	v_add_f16_sdwa v174, v174, v37 dst_sel:DWORD dst_unused:UNUSED_PAD src0_sel:DWORD src1_sel:WORD_1
	v_add_f16_e32 v113, v113, v37
	v_add_f16_sdwa v114, v114, v37 dst_sel:DWORD dst_unused:UNUSED_PAD src0_sel:DWORD src1_sel:WORD_1
	;; [unrolled: 2-line block ×16, first 2 shown]
	v_add_f16_e32 v102, v104, v102
	v_add_f16_e32 v95, v103, v95
	v_mul_f16_e32 v168, 0xbbf7, v125
	v_mul_f16_e32 v169, 0xb1e1, v124
	;; [unrolled: 1-line block ×3, first 2 shown]
	v_fma_f16 v142, v112, 0x2de8, -v142
	v_fmamk_f16 v192, v112, 0xb8d2, v144
	v_fma_f16 v144, v112, 0xb8d2, -v144
	v_fmamk_f16 v194, v112, 0xbbdd, v146
	v_fma_f16 v146, v112, 0xbbdd, -v146
	v_fmamk_f16 v196, v112, 0xbacd, v148
	v_fma_f16 v148, v112, 0xbacd, -v148
	v_fmamk_f16 v198, v112, 0xb461, v150
	v_fma_f16 v150, v112, 0xb461, -v150
	v_fmamk_f16 v200, v112, 0x3722, v152
	v_fma_f16 v152, v112, 0x3722, -v152
	v_fmamk_f16 v202, v112, 0x3b76, v117
	v_fma_f16 v112, v119, 0x3722, -v153
	v_fmac_f16_e32 v153, 0x3722, v119
	v_fma_f16 v117, v119, 0xb8d2, -v154
	v_fmac_f16_e32 v154, 0xb8d2, v119
	;; [unrolled: 2-line block ×8, first 2 shown]
	v_fmamk_f16 v109, v122, 0x3722, v160
	v_fma_f16 v110, v122, 0x3722, -v160
	v_fmamk_f16 v119, v122, 0xb8d2, v161
	v_fmamk_f16 v213, v122, 0xbacd, v121
	v_fma_f16 v121, v122, 0xbacd, -v121
	v_add_f16_e32 v105, v108, v173
	v_add_f16_e32 v106, v115, v174
	;; [unrolled: 1-line block ×10, first 2 shown]
	v_mul_f16_e32 v167, 0xbbf7, v124
	v_mul_f16_e32 v171, 0x3bb2, v124
	;; [unrolled: 1-line block ×3, first 2 shown]
	v_fma_f16 v160, v122, 0xb8d2, -v161
	v_fmamk_f16 v161, v122, 0xbbdd, v162
	v_fma_f16 v162, v122, 0xbbdd, -v162
	v_fmamk_f16 v214, v126, 0x2de8, v168
	v_fma_f16 v168, v126, 0x2de8, -v168
	v_fma_f16 v215, v123, 0xbbdd, -v169
	v_fmamk_f16 v216, v126, 0xbbdd, v170
	v_fmac_f16_e32 v169, 0xbbdd, v123
	v_add_f16_e32 v127, v142, v128
	v_add_f16_e32 v128, v191, v177
	;; [unrolled: 1-line block ×13, first 2 shown]
	v_fmamk_f16 v209, v122, 0xb461, v163
	v_fma_f16 v163, v122, 0xb461, -v163
	v_fmamk_f16 v210, v122, 0x39e9, v164
	v_fma_f16 v164, v122, 0x39e9, -v164
	;; [unrolled: 2-line block ×4, first 2 shown]
	v_fma_f16 v122, v123, 0x2de8, -v167
	v_fmac_f16_e32 v167, 0x2de8, v123
	v_fma_f16 v170, v126, 0xbbdd, -v170
	v_fma_f16 v217, v123, 0xb461, -v171
	v_add_f16_e32 v140, v193, v179
	v_add_f16_e32 v141, v194, v180
	v_add_f16_e32 v131, v145, v131
	v_add_f16_e32 v105, v112, v105
	v_add_f16_e32 v107, v153, v107
	v_add_f16_e32 v112, v160, v127
	v_add_f16_e32 v113, v203, v128
	v_add_f16_e32 v114, v161, v139
	v_add_f16_e32 v115, v155, v129
	v_add_f16_e32 v117, v162, v130
	v_add_f16_e32 v97, v214, v106
	v_add_f16_e32 v101, v168, v108
	v_add_f16_e32 v37, v37, v99
	v_add_f16_sdwa v95, v95, v98 dst_sel:WORD_1 dst_unused:UNUSED_PAD src0_sel:DWORD src1_sel:DWORD
	v_add_f16_e32 v98, v215, v109
	v_add_f16_e32 v99, v216, v110
	;; [unrolled: 1-line block ×3, first 2 shown]
	v_fmamk_f16 v108, v126, 0xb461, v172
	v_mul_f16_e32 v109, 0x35c8, v124
	v_fmac_f16_e32 v171, 0xb461, v123
	v_fma_f16 v110, v126, 0xb461, -v172
	v_mul_f16_e32 v111, 0x35c8, v125
	v_add_f16_e32 v132, v146, v132
	v_add_f16_e32 v133, v147, v133
	v_add_f16_e32 v134, v148, v134
	v_add_f16_e32 v116, v118, v116
	v_add_f16_e32 v118, v204, v140
	v_add_f16_e32 v119, v209, v141
	v_add_f16_e32 v127, v156, v131
	v_add_f16_e32 v100, v167, v107
	v_add_f16_e32 v107, v170, v112
	v_or_b32_sdwa v37, v95, v37 dst_sel:DWORD dst_unused:UNUSED_PAD src0_sel:DWORD src1_sel:WORD_0
	v_add_f16_e32 v95, v217, v113
	v_add_f16_e32 v108, v108, v114
	v_fma_f16 v112, v123, 0x3b76, -v109
	v_add_f16_e32 v113, v171, v115
	v_add_f16_e32 v110, v110, v117
	v_fmamk_f16 v114, v126, 0x3b76, v111
	v_mul_f16_e32 v115, 0xbb29, v124
	v_fmac_f16_e32 v109, 0x3b76, v123
	v_mul_f16_e32 v117, 0xbb29, v125
	v_add_f16_e32 v144, v197, v183
	v_add_f16_e32 v148, v201, v187
	;; [unrolled: 1-line block ×8, first 2 shown]
	v_fma_f16 v116, v123, 0x3722, -v115
	v_add_f16_e32 v109, v109, v127
	v_mul_f16_e32 v118, 0xb836, v124
	v_fmamk_f16 v119, v126, 0x3722, v117
	v_fmac_f16_e32 v115, 0x3722, v123
	v_fma_f16 v117, v126, 0x3722, -v117
	v_mul_f16_e32 v127, 0x3a62, v124
	v_mul_f16_e32 v124, 0x3964, v124
	v_add_f16_e32 v142, v195, v181
	v_add_f16_e32 v133, v206, v144
	;; [unrolled: 1-line block ×3, first 2 shown]
	v_fma_f16 v111, v126, 0x3b76, -v111
	v_fma_f16 v120, v123, 0xbacd, -v118
	v_add_f16_e32 v115, v115, v131
	v_add_f16_e32 v117, v117, v132
	v_fma_f16 v131, v123, 0x39e9, -v124
	v_sub_f16_e32 v132, v91, v92
	v_add_f16_e32 v143, v196, v182
	v_add_f16_e32 v129, v205, v142
	;; [unrolled: 1-line block ×3, first 2 shown]
	v_mul_f16_e32 v121, 0xb836, v125
	v_add_f16_e32 v120, v120, v133
	v_mul_f16_e32 v128, 0x3a62, v125
	v_mul_f16_e32 v125, 0x3964, v125
	v_add_f16_e32 v104, v131, v104
	v_add_f16_e32 v131, v93, v94
	v_mul_f16_e32 v133, 0xbbb2, v132
	v_sub_f16_e32 v93, v93, v94
	v_add_f16_e32 v138, v152, v138
	v_add_f16_e32 v130, v210, v143
	;; [unrolled: 1-line block ×4, first 2 shown]
	v_fmac_f16_e32 v118, 0xbacd, v123
	v_fma_f16 v129, v123, 0xb8d2, -v127
	v_fmac_f16_e32 v127, 0xb8d2, v123
	v_fmac_f16_e32 v124, 0x39e9, v123
	v_fma_f16 v94, v126, 0x39e9, -v125
	v_add_f16_e32 v91, v91, v92
	v_fma_f16 v92, v131, 0xb461, -v133
	v_mul_f16_e32 v123, 0xbbb2, v93
	v_add_f16_e32 v103, v166, v138
	v_add_f16_e32 v119, v119, v130
	v_fmamk_f16 v130, v126, 0xb8d2, v128
	v_fma_f16 v128, v126, 0xb8d2, -v128
	v_add_f16_e32 v96, v124, v96
	v_add_f16_e32 v94, v94, v102
	;; [unrolled: 1-line block ×3, first 2 shown]
	v_fmamk_f16 v102, v91, 0xb461, v123
	v_mul_f16_e32 v105, 0x3836, v132
	v_fma_f16 v123, v91, 0xb461, -v123
	v_mul_f16_e32 v124, 0x3836, v93
	v_add_f16_e32 v135, v149, v135
	v_add_f16_e32 v149, v202, v188
	v_fmamk_f16 v122, v126, 0xbacd, v121
	v_fma_f16 v121, v126, 0xbacd, -v121
	v_add_f16_e32 v103, v128, v103
	v_fmamk_f16 v128, v126, 0x39e9, v125
	v_add_f16_e32 v97, v102, v97
	v_fma_f16 v102, v131, 0xbacd, -v105
	v_add_f16_e32 v101, v123, v101
	v_fmamk_f16 v123, v91, 0xbacd, v124
	v_mul_f16_e32 v126, 0x3964, v132
	v_add_f16_e32 v138, v213, v149
	v_add_f16_e32 v98, v102, v98
	v_fmac_f16_e32 v105, 0xbacd, v131
	v_fma_f16 v102, v91, 0xbacd, -v124
	v_add_f16_e32 v99, v123, v99
	v_fma_f16 v123, v131, 0x39e9, -v126
	v_mul_f16_e32 v124, 0x3964, v93
	v_add_f16_e32 v125, v128, v138
	v_add_f16_e32 v105, v105, v106
	;; [unrolled: 1-line block ×3, first 2 shown]
	v_mul_f16_e32 v106, 0xbb29, v132
	v_add_f16_e32 v95, v123, v95
	v_fmamk_f16 v107, v91, 0x39e9, v124
	v_fmac_f16_e32 v126, 0x39e9, v131
	v_fma_f16 v123, v91, 0x39e9, -v124
	v_mul_f16_e32 v128, 0xbb29, v93
	v_fma_f16 v124, v131, 0x3722, -v106
	v_add_f16_e32 v107, v107, v108
	v_add_f16_e32 v108, v126, v113
	v_add_f16_e32 v110, v123, v110
	v_fmamk_f16 v113, v91, 0x3722, v128
	v_mul_f16_e32 v123, 0xb1e1, v132
	v_add_f16_e32 v112, v124, v112
	v_fmac_f16_e32 v106, 0x3722, v131
	v_fma_f16 v124, v91, 0x3722, -v128
	v_mul_f16_e32 v126, 0xb1e1, v93
	v_add_f16_e32 v113, v113, v114
	v_fma_f16 v114, v131, 0xbbdd, -v123
	v_add_f16_e32 v145, v198, v184
	v_add_f16_e32 v146, v199, v185
	;; [unrolled: 1-line block ×5, first 2 shown]
	v_fmamk_f16 v111, v91, 0xbbdd, v126
	v_mul_f16_e32 v124, 0x3bf7, v132
	v_add_f16_e32 v114, v114, v116
	v_fma_f16 v116, v91, 0xbbdd, -v126
	v_add_f16_e32 v136, v150, v136
	v_add_f16_e32 v134, v211, v145
	;; [unrolled: 1-line block ×5, first 2 shown]
	v_fmac_f16_e32 v123, 0xbbdd, v131
	v_add_f16_e32 v111, v111, v119
	v_fma_f16 v119, v131, 0x2de8, -v124
	v_mul_f16_e32 v126, 0x3bf7, v93
	v_add_f16_e32 v116, v116, v117
	v_mul_f16_e32 v117, 0xb5c8, v132
	v_add_f16_e32 v136, v165, v136
	v_add_f16_e32 v122, v122, v134
	;; [unrolled: 1-line block ×7, first 2 shown]
	v_fmamk_f16 v120, v91, 0x2de8, v126
	v_fmac_f16_e32 v124, 0x2de8, v131
	v_fma_f16 v123, v91, 0x2de8, -v126
	v_fma_f16 v126, v131, 0x3b76, -v117
	v_mul_f16_e32 v128, 0xb5c8, v93
	v_fmac_f16_e32 v117, 0x3b76, v131
	v_add_f16_e32 v121, v121, v136
	v_add_f16_e32 v120, v120, v122
	;; [unrolled: 1-line block ×4, first 2 shown]
	v_mul_f16_e32 v124, 0xba62, v132
	v_fma_f16 v126, v91, 0x3b76, -v128
	v_add_f16_e32 v117, v117, v127
	v_add_f16_e32 v127, v89, v90
	v_sub_f16_e32 v89, v89, v90
	v_add_f16_e32 v121, v123, v121
	v_fmamk_f16 v123, v91, 0x3b76, v128
	v_mul_f16_e32 v93, 0xba62, v93
	v_fma_f16 v128, v131, 0xb8d2, -v124
	v_add_f16_e32 v103, v126, v103
	v_sub_f16_e32 v126, v87, v88
	v_fmac_f16_e32 v124, 0xb8d2, v131
	v_add_f16_e32 v87, v87, v88
	v_mul_f16_e32 v88, 0xba62, v89
	v_fmac_f16_e32 v133, 0xb461, v131
	v_fmamk_f16 v129, v91, 0xb8d2, v93
	v_mul_f16_e32 v90, 0xba62, v126
	v_fma_f16 v91, v91, 0xb8d2, -v93
	v_add_f16_e32 v96, v124, v96
	v_fmamk_f16 v124, v87, 0xb8d2, v88
	v_add_f16_e32 v100, v133, v100
	v_fma_f16 v93, v127, 0xb8d2, -v90
	v_add_f16_e32 v91, v91, v94
	v_mul_f16_e32 v94, 0x3bb2, v126
	v_fmac_f16_e32 v90, 0xb8d2, v127
	v_fma_f16 v88, v87, 0xb8d2, -v88
	v_add_f16_e32 v97, v124, v97
	v_mul_f16_e32 v124, 0x3bb2, v89
	v_add_f16_e32 v92, v93, v92
	v_fma_f16 v93, v127, 0xb461, -v94
	v_add_f16_e32 v90, v90, v100
	v_add_f16_e32 v88, v88, v101
	v_fmamk_f16 v100, v87, 0xb461, v124
	v_fma_f16 v101, v87, 0xb461, -v124
	v_mul_f16_e32 v124, 0xb5c8, v89
	v_add_f16_e32 v93, v93, v98
	v_mul_f16_e32 v98, 0xb5c8, v126
	v_fmac_f16_e32 v94, 0xb461, v127
	v_add_f16_e32 v99, v100, v99
	v_add_f16_e32 v100, v101, v102
	v_fmamk_f16 v101, v87, 0x3b76, v124
	v_add_f16_e32 v104, v128, v104
	v_fma_f16 v128, v127, 0x3b76, -v98
	v_add_f16_e32 v94, v94, v105
	v_mul_f16_e32 v102, 0xb836, v126
	v_fmac_f16_e32 v98, 0x3b76, v127
	v_fma_f16 v105, v87, 0x3b76, -v124
	v_add_f16_e32 v101, v101, v107
	v_mul_f16_e32 v107, 0xb836, v89
	v_fma_f16 v124, v127, 0xbacd, -v102
	v_add_f16_e32 v98, v98, v108
	v_add_f16_e32 v105, v105, v110
	v_mul_f16_e32 v108, 0x3bf7, v126
	v_fmamk_f16 v110, v87, 0xbacd, v107
	v_add_f16_e32 v112, v124, v112
	v_fmac_f16_e32 v102, 0xbacd, v127
	v_fma_f16 v107, v87, 0xbacd, -v107
	v_fma_f16 v124, v127, 0x2de8, -v108
	v_add_f16_e32 v110, v110, v113
	v_mul_f16_e32 v113, 0x3bf7, v89
	v_add_f16_e32 v147, v200, v186
	v_add_f16_e32 v102, v102, v106
	v_add_f16_e32 v106, v107, v109
	v_add_f16_e32 v107, v124, v114
	v_mul_f16_e32 v109, 0xb964, v126
	v_fmamk_f16 v114, v87, 0x2de8, v113
	v_mul_f16_e32 v124, 0xb964, v89
	v_add_f16_e32 v140, v212, v147
	v_add_f16_e32 v95, v128, v95
	v_fmac_f16_e32 v108, 0x2de8, v127
	v_fma_f16 v113, v87, 0x2de8, -v113
	v_fma_f16 v128, v127, 0x39e9, -v109
	v_add_f16_e32 v111, v114, v111
	v_fmamk_f16 v114, v87, 0x39e9, v124
	v_add_f16_e32 v130, v130, v140
	v_add_f16_e32 v108, v108, v115
	;; [unrolled: 1-line block ×4, first 2 shown]
	v_mul_f16_e32 v116, 0xb1e1, v126
	v_fmac_f16_e32 v109, 0x39e9, v127
	v_fma_f16 v119, v87, 0x39e9, -v124
	v_add_f16_e32 v114, v114, v120
	v_mul_f16_e32 v120, 0xb1e1, v89
	v_add_f16_e32 v123, v123, v130
	v_fma_f16 v124, v127, 0xbbdd, -v116
	v_add_f16_e32 v109, v109, v118
	v_add_f16_e32 v118, v119, v121
	v_fmamk_f16 v121, v87, 0xbbdd, v120
	v_fmac_f16_e32 v116, 0xbbdd, v127
	v_mul_f16_e32 v119, 0x3b29, v126
	v_fma_f16 v120, v87, 0xbbdd, -v120
	v_mul_f16_e32 v89, 0x3b29, v89
	v_add_f16_e32 v121, v121, v123
	v_add_f16_e32 v116, v116, v117
	v_sub_f16_e32 v117, v83, v84
	v_sub_f16_e32 v123, v85, v86
	v_add_f16_e32 v125, v129, v125
	v_add_f16_e32 v122, v124, v122
	v_fma_f16 v124, v127, 0x3722, -v119
	v_add_f16_e32 v103, v120, v103
	v_fmamk_f16 v120, v87, 0x3722, v89
	v_fmac_f16_e32 v119, 0x3722, v127
	v_add_f16_e32 v85, v85, v86
	v_mul_f16_e32 v86, 0xb836, v117
	v_fma_f16 v87, v87, 0x3722, -v89
	v_add_f16_e32 v83, v83, v84
	v_mul_f16_e32 v84, 0xb836, v123
	v_add_f16_e32 v89, v120, v125
	v_fma_f16 v120, v85, 0xbacd, -v86
	v_add_f16_e32 v96, v119, v96
	v_add_f16_e32 v87, v87, v91
	v_fmamk_f16 v91, v83, 0xbacd, v84
	v_mul_f16_e32 v119, 0x3b29, v117
	v_add_f16_e32 v92, v120, v92
	v_fmac_f16_e32 v86, 0xbacd, v85
	v_fma_f16 v84, v83, 0xbacd, -v84
	v_add_f16_e32 v91, v91, v97
	v_fma_f16 v97, v85, 0x3722, -v119
	v_mul_f16_e32 v120, 0x3b29, v123
	v_add_f16_e32 v104, v124, v104
	v_add_f16_e32 v86, v86, v90
	v_add_f16_e32 v84, v84, v88
	v_mul_f16_e32 v88, 0xbbf7, v117
	v_add_f16_e32 v90, v97, v93
	v_fmamk_f16 v93, v83, 0x3722, v120
	v_fma_f16 v97, v83, 0x3722, -v120
	v_mul_f16_e32 v124, 0xbbf7, v123
	v_fmac_f16_e32 v119, 0x3722, v85
	v_fma_f16 v120, v85, 0x2de8, -v88
	v_add_f16_e32 v93, v93, v99
	v_add_f16_e32 v97, v97, v100
	v_fmamk_f16 v99, v83, 0x2de8, v124
	v_mul_f16_e32 v100, 0x3a62, v117
	v_add_f16_e32 v94, v119, v94
	v_add_f16_e32 v95, v120, v95
	v_fmac_f16_e32 v88, 0x2de8, v85
	v_fma_f16 v119, v83, 0x2de8, -v124
	v_mul_f16_e32 v120, 0x3a62, v123
	v_add_f16_e32 v99, v99, v101
	v_fma_f16 v101, v85, 0xb8d2, -v100
	v_add_f16_e32 v88, v88, v98
	v_add_f16_e32 v98, v119, v105
	v_fmamk_f16 v105, v83, 0xb8d2, v120
	v_mul_f16_e32 v119, 0xb5c8, v117
	v_add_f16_e32 v101, v101, v112
	v_fmac_f16_e32 v100, 0xb8d2, v85
	v_fma_f16 v112, v83, 0xb8d2, -v120
	v_add_f16_e32 v105, v105, v110
	v_fma_f16 v110, v85, 0x3b76, -v119
	v_mul_f16_e32 v120, 0xb5c8, v123
	v_add_f16_e32 v100, v100, v102
	v_add_f16_e32 v102, v112, v106
	v_mul_f16_e32 v106, 0xb1e1, v117
	v_add_f16_e32 v107, v110, v107
	v_fmamk_f16 v110, v83, 0x3b76, v120
	v_fmac_f16_e32 v119, 0x3b76, v85
	v_fma_f16 v112, v83, 0x3b76, -v120
	v_fma_f16 v120, v85, 0xbbdd, -v106
	v_mul_f16_e32 v124, 0xb1e1, v123
	v_add_f16_e32 v110, v110, v111
	v_add_f16_e32 v108, v119, v108
	;; [unrolled: 1-line block ×4, first 2 shown]
	v_fmamk_f16 v113, v83, 0xbbdd, v124
	v_mul_f16_e32 v115, 0x3964, v117
	v_fmac_f16_e32 v106, 0xbbdd, v85
	v_fma_f16 v119, v83, 0xbbdd, -v124
	v_mul_f16_e32 v120, 0x3964, v123
	v_mul_f16_e32 v117, 0xbbb2, v117
	v_add_f16_e32 v113, v113, v114
	v_fma_f16 v114, v85, 0x39e9, -v115
	v_add_f16_e32 v106, v106, v109
	v_add_f16_e32 v109, v119, v118
	v_fmamk_f16 v118, v83, 0x39e9, v120
	v_fmac_f16_e32 v115, 0x39e9, v85
	v_fma_f16 v119, v83, 0x39e9, -v120
	v_fma_f16 v120, v85, 0xb461, -v117
	v_fmac_f16_e32 v117, 0xb461, v85
	v_add_f16_e32 v118, v118, v121
	v_mul_f16_e32 v121, 0xbbb2, v123
	v_add_f16_e32 v115, v115, v116
	v_sub_f16_e32 v116, v48, v81
	v_add_f16_e32 v104, v120, v104
	v_add_f16_e32 v120, v38, v82
	v_sub_f16_e32 v38, v38, v82
	v_add_f16_e32 v103, v119, v103
	v_fmamk_f16 v119, v83, 0xb461, v121
	v_mul_f16_e32 v82, 0xb1e1, v116
	v_fma_f16 v83, v83, 0xb461, -v121
	v_add_f16_e32 v48, v48, v81
	v_mul_f16_e32 v81, 0xb1e1, v38
	v_add_f16_e32 v96, v117, v96
	v_fma_f16 v85, v120, 0xbbdd, -v82
	v_add_f16_e32 v83, v83, v87
	v_fmac_f16_e32 v82, 0xbbdd, v120
	v_fmamk_f16 v87, v48, 0xbbdd, v81
	v_fma_f16 v81, v48, 0xbbdd, -v81
	v_add_f16_e32 v85, v85, v92
	v_mul_f16_e32 v92, 0x35c8, v116
	v_add_f16_e32 v82, v82, v86
	v_add_f16_e32 v87, v87, v91
	v_mul_f16_e32 v91, 0x35c8, v38
	v_add_f16_e32 v81, v81, v84
	v_fma_f16 v117, v120, 0x3b76, -v92
	v_mul_f16_e32 v84, 0xb836, v116
	v_fmac_f16_e32 v92, 0x3b76, v120
	v_fmamk_f16 v86, v48, 0x3b76, v91
	v_fma_f16 v91, v48, 0x3b76, -v91
	v_add_f16_e32 v90, v117, v90
	v_fma_f16 v117, v120, 0xbacd, -v84
	v_add_f16_e32 v92, v92, v94
	v_add_f16_e32 v86, v86, v93
	v_mul_f16_e32 v93, 0xb836, v38
	v_add_f16_e32 v91, v91, v97
	v_add_f16_e32 v94, v117, v95
	v_mul_f16_e32 v95, 0x3964, v116
	v_fmac_f16_e32 v84, 0xbacd, v120
	v_fmamk_f16 v97, v48, 0xbacd, v93
	v_fma_f16 v93, v48, 0xbacd, -v93
	v_mul_f16_e32 v117, 0x3964, v38
	v_add_f16_e32 v89, v119, v89
	v_fma_f16 v119, v120, 0x39e9, -v95
	v_add_f16_e32 v84, v84, v88
	v_add_f16_e32 v88, v93, v98
	v_fmamk_f16 v93, v48, 0x39e9, v117
	v_add_f16_e32 v97, v97, v99
	v_add_f16_e32 v98, v119, v101
	v_mul_f16_e32 v99, 0xba62, v116
	v_fmac_f16_e32 v95, 0x39e9, v120
	v_fma_f16 v101, v48, 0x39e9, -v117
	v_add_f16_e32 v93, v93, v105
	v_mul_f16_e32 v105, 0xba62, v38
	v_fma_f16 v117, v120, 0xb8d2, -v99
	v_add_f16_e32 v95, v95, v100
	v_add_f16_e32 v100, v101, v102
	v_mul_f16_e32 v101, 0x3b29, v116
	v_fmamk_f16 v102, v48, 0xb8d2, v105
	v_add_f16_e32 v107, v117, v107
	v_fmac_f16_e32 v99, 0xb8d2, v120
	v_fma_f16 v105, v48, 0xb8d2, -v105
	v_fma_f16 v117, v120, 0x3722, -v101
	v_add_f16_e32 v102, v102, v110
	v_mul_f16_e32 v110, 0x3b29, v38
	v_add_f16_e32 v99, v99, v108
	v_add_f16_e32 v105, v105, v111
	;; [unrolled: 1-line block ×3, first 2 shown]
	v_mul_f16_e32 v111, 0xbbb2, v116
	v_fmamk_f16 v112, v48, 0x3722, v110
	v_fmac_f16_e32 v101, 0x3722, v120
	v_mul_f16_e32 v117, 0xbbb2, v38
	v_add_f16_e32 v114, v114, v122
	v_fma_f16 v110, v48, 0x3722, -v110
	v_fma_f16 v119, v120, 0xb461, -v111
	v_add_f16_e32 v112, v112, v113
	v_mul_f16_e32 v113, 0x3bf7, v116
	v_mul_f16_e32 v38, 0x3bf7, v38
	v_add_f16_e32 v101, v101, v106
	v_fmamk_f16 v106, v48, 0xb461, v117
	v_add_f16_e32 v109, v110, v109
	v_add_f16_e32 v110, v119, v114
	v_fma_f16 v114, v48, 0xb461, -v117
	v_fma_f16 v116, v120, 0x2de8, -v113
	v_fmamk_f16 v117, v48, 0x2de8, v38
	v_fmac_f16_e32 v113, 0x2de8, v120
	v_fma_f16 v38, v48, 0x2de8, -v38
	v_fmac_f16_e32 v111, 0xb461, v120
	v_add_f16_e32 v106, v106, v118
	v_add_f16_e32 v104, v116, v104
	v_add_f16_e32 v89, v117, v89
	v_add_f16_e32 v96, v113, v96
	v_pack_b32_f16 v48, v85, v87
	v_add_f16_e32 v38, v38, v83
	v_add_f16_e32 v111, v111, v115
	;; [unrolled: 1-line block ×3, first 2 shown]
	v_pack_b32_f16 v85, v90, v86
	v_pack_b32_f16 v86, v94, v97
	;; [unrolled: 1-line block ×6, first 2 shown]
	ds_write2_b32 v49, v37, v48 offset1:119
	ds_write2_b32 v41, v85, v86 offset0:110 offset1:229
	ds_write2_b32 v42, v87, v90 offset0:92 offset1:211
	;; [unrolled: 1-line block ×3, first 2 shown]
	v_pack_b32_f16 v37, v104, v89
	v_pack_b32_f16 v38, v96, v38
	;; [unrolled: 1-line block ×9, first 2 shown]
	ds_write2_b32 v47, v37, v38 offset0:56 offset1:175
	ds_write2_b32 v43, v48, v83 offset0:38 offset1:157
	;; [unrolled: 1-line block ×4, first 2 shown]
	ds_write_b32 v49, v81 offset:7616
	v_add_co_u32 v37, s0, 0x1f9c, v39
	v_add_co_ci_u32_e64 v38, s0, 0, v40, s0
	s_waitcnt lgkmcnt(0)
	s_barrier
	buffer_gl0_inv
	s_clause 0x4
	global_load_dword v48, v[29:30], off offset:1948
	global_load_dword v81, v[37:38], off offset:476
	;; [unrolled: 1-line block ×5, first 2 shown]
	v_add_co_u32 v29, s0, 0x2800, v39
	v_add_co_ci_u32_e64 v30, s0, 0, v40, s0
	s_clause 0x3
	global_load_dword v85, v[29:30], off offset:232
	global_load_dword v86, v[29:30], off offset:708
	global_load_dword v87, v[29:30], off offset:1184
	global_load_dword v88, v[29:30], off offset:1660
	v_add_co_u32 v29, s0, 0x3000, v39
	v_add_co_ci_u32_e64 v30, s0, 0, v40, s0
	s_clause 0x3
	global_load_dword v89, v[29:30], off offset:88
	global_load_dword v90, v[29:30], off offset:564
	global_load_dword v91, v[29:30], off offset:1040
	global_load_dword v92, v[29:30], off offset:1516
	;; [unrolled: 7-line block ×3, first 2 shown]
	ds_read2_b32 v[29:30], v49 offset1:119
	v_mov_b32_e32 v135, 0x3836
	s_waitcnt lgkmcnt(0)
	v_lshrrev_b32_e32 v37, 16, v29
	v_lshrrev_b32_e32 v38, 16, v30
	s_waitcnt vmcnt(16)
	v_mul_f16_sdwa v39, v37, v48 dst_sel:DWORD dst_unused:UNUSED_PAD src0_sel:DWORD src1_sel:WORD_1
	v_mul_f16_sdwa v40, v29, v48 dst_sel:DWORD dst_unused:UNUSED_PAD src0_sel:DWORD src1_sel:WORD_1
	s_waitcnt vmcnt(15)
	v_mul_f16_sdwa v97, v38, v81 dst_sel:DWORD dst_unused:UNUSED_PAD src0_sel:DWORD src1_sel:WORD_1
	v_mul_f16_sdwa v98, v30, v81 dst_sel:DWORD dst_unused:UNUSED_PAD src0_sel:DWORD src1_sel:WORD_1
	v_fma_f16 v29, v29, v48, -v39
	v_fmac_f16_e32 v40, v37, v48
	v_fma_f16 v30, v30, v81, -v97
	v_fmac_f16_e32 v98, v38, v81
	v_pack_b32_f16 v29, v29, v40
	v_pack_b32_f16 v30, v30, v98
	ds_write2_b32 v49, v29, v30 offset1:119
	ds_read2_b32 v[29:30], v41 offset0:110 offset1:229
	ds_read2_b32 v[37:38], v42 offset0:92 offset1:211
	s_waitcnt lgkmcnt(1)
	v_lshrrev_b32_e32 v48, 16, v29
	s_waitcnt vmcnt(14)
	v_mul_f16_sdwa v81, v29, v82 dst_sel:DWORD dst_unused:UNUSED_PAD src0_sel:DWORD src1_sel:WORD_1
	v_lshrrev_b32_e32 v97, 16, v30
	s_waitcnt lgkmcnt(0)
	v_lshrrev_b32_e32 v98, 16, v37
	v_lshrrev_b32_e32 v99, 16, v38
	v_mul_f16_sdwa v39, v48, v82 dst_sel:DWORD dst_unused:UNUSED_PAD src0_sel:DWORD src1_sel:WORD_1
	v_fmac_f16_e32 v81, v48, v82
	s_waitcnt vmcnt(13)
	v_mul_f16_sdwa v48, v97, v83 dst_sel:DWORD dst_unused:UNUSED_PAD src0_sel:DWORD src1_sel:WORD_1
	v_fma_f16 v29, v29, v82, -v39
	ds_read2_b32 v[39:40], v44 offset0:74 offset1:193
	v_mul_f16_sdwa v82, v30, v83 dst_sel:DWORD dst_unused:UNUSED_PAD src0_sel:DWORD src1_sel:WORD_1
	v_fma_f16 v48, v30, v83, -v48
	v_pack_b32_f16 v81, v29, v81
	ds_read2_b32 v[29:30], v47 offset0:56 offset1:175
	v_fmac_f16_e32 v82, v97, v83
	s_waitcnt vmcnt(12)
	v_mul_f16_sdwa v83, v98, v84 dst_sel:DWORD dst_unused:UNUSED_PAD src0_sel:DWORD src1_sel:WORD_1
	v_mul_f16_sdwa v97, v37, v84 dst_sel:DWORD dst_unused:UNUSED_PAD src0_sel:DWORD src1_sel:WORD_1
	v_pack_b32_f16 v48, v48, v82
	v_fma_f16 v37, v37, v84, -v83
	v_fmac_f16_e32 v97, v98, v84
	s_waitcnt vmcnt(11)
	v_mul_f16_sdwa v82, v99, v85 dst_sel:DWORD dst_unused:UNUSED_PAD src0_sel:DWORD src1_sel:WORD_1
	ds_write2_b32 v41, v81, v48 offset0:110 offset1:229
	v_mul_f16_sdwa v48, v38, v85 dst_sel:DWORD dst_unused:UNUSED_PAD src0_sel:DWORD src1_sel:WORD_1
	v_pack_b32_f16 v83, v37, v97
	v_fma_f16 v82, v38, v85, -v82
	s_waitcnt lgkmcnt(2)
	v_lshrrev_b32_e32 v81, 16, v39
	v_lshrrev_b32_e32 v84, 16, v40
	ds_read2_b32 v[37:38], v43 offset0:38 offset1:157
	v_fmac_f16_e32 v48, v99, v85
	s_waitcnt vmcnt(10)
	v_mul_f16_sdwa v97, v39, v86 dst_sel:DWORD dst_unused:UNUSED_PAD src0_sel:DWORD src1_sel:WORD_1
	v_mul_f16_sdwa v85, v81, v86 dst_sel:DWORD dst_unused:UNUSED_PAD src0_sel:DWORD src1_sel:WORD_1
	s_waitcnt vmcnt(9)
	v_mul_f16_sdwa v98, v84, v87 dst_sel:DWORD dst_unused:UNUSED_PAD src0_sel:DWORD src1_sel:WORD_1
	v_mul_f16_sdwa v99, v40, v87 dst_sel:DWORD dst_unused:UNUSED_PAD src0_sel:DWORD src1_sel:WORD_1
	s_waitcnt lgkmcnt(2)
	v_lshrrev_b32_e32 v100, 16, v29
	v_fmac_f16_e32 v97, v81, v86
	v_fma_f16 v39, v39, v86, -v85
	v_fma_f16 v40, v40, v87, -v98
	v_fmac_f16_e32 v99, v84, v87
	v_pack_b32_f16 v48, v82, v48
	s_waitcnt vmcnt(8)
	v_mul_f16_sdwa v81, v100, v88 dst_sel:DWORD dst_unused:UNUSED_PAD src0_sel:DWORD src1_sel:WORD_1
	v_pack_b32_f16 v82, v39, v97
	v_mul_f16_sdwa v84, v29, v88 dst_sel:DWORD dst_unused:UNUSED_PAD src0_sel:DWORD src1_sel:WORD_1
	v_pack_b32_f16 v85, v40, v99
	ds_read2_b32 v[39:40], v80 offset0:20 offset1:139
	v_lshrrev_b32_e32 v86, 16, v30
	ds_write2_b32 v42, v83, v48 offset0:92 offset1:211
	ds_write2_b32 v44, v82, v85 offset0:74 offset1:193
	v_fma_f16 v29, v29, v88, -v81
	v_fmac_f16_e32 v84, v100, v88
	s_waitcnt lgkmcnt(3)
	v_lshrrev_b32_e32 v48, 16, v37
	s_waitcnt vmcnt(7)
	v_mul_f16_sdwa v83, v86, v89 dst_sel:DWORD dst_unused:UNUSED_PAD src0_sel:DWORD src1_sel:WORD_1
	ds_read2_b32 v[81:82], v46 offset0:130 offset1:249
	v_lshrrev_b32_e32 v85, 16, v38
	v_pack_b32_f16 v29, v29, v84
	v_mul_f16_sdwa v84, v30, v89 dst_sel:DWORD dst_unused:UNUSED_PAD src0_sel:DWORD src1_sel:WORD_1
	s_waitcnt vmcnt(6)
	v_mul_f16_sdwa v87, v48, v90 dst_sel:DWORD dst_unused:UNUSED_PAD src0_sel:DWORD src1_sel:WORD_1
	v_fma_f16 v30, v30, v89, -v83
	v_mul_f16_sdwa v83, v37, v90 dst_sel:DWORD dst_unused:UNUSED_PAD src0_sel:DWORD src1_sel:WORD_1
	ds_read_b32 v88, v49 offset:7616
	v_fmac_f16_e32 v84, v86, v89
	s_waitcnt vmcnt(5)
	v_mul_f16_sdwa v86, v85, v91 dst_sel:DWORD dst_unused:UNUSED_PAD src0_sel:DWORD src1_sel:WORD_1
	v_fma_f16 v37, v37, v90, -v87
	v_mul_f16_sdwa v87, v38, v91 dst_sel:DWORD dst_unused:UNUSED_PAD src0_sel:DWORD src1_sel:WORD_1
	v_fmac_f16_e32 v83, v48, v90
	s_waitcnt lgkmcnt(4)
	v_lshrrev_b32_e32 v48, 16, v39
	v_fma_f16 v38, v38, v91, -v86
	v_pack_b32_f16 v30, v30, v84
	v_fmac_f16_e32 v87, v85, v91
	v_pack_b32_f16 v37, v37, v83
	v_lshrrev_b32_e32 v83, 16, v40
	s_waitcnt vmcnt(4)
	v_mul_f16_sdwa v84, v48, v92 dst_sel:DWORD dst_unused:UNUSED_PAD src0_sel:DWORD src1_sel:WORD_1
	v_mul_f16_sdwa v85, v39, v92 dst_sel:DWORD dst_unused:UNUSED_PAD src0_sel:DWORD src1_sel:WORD_1
	v_pack_b32_f16 v38, v38, v87
	s_waitcnt lgkmcnt(1)
	v_lshrrev_b32_e32 v86, 16, v81
	s_waitcnt vmcnt(3)
	v_mul_f16_sdwa v87, v83, v93 dst_sel:DWORD dst_unused:UNUSED_PAD src0_sel:DWORD src1_sel:WORD_1
	v_fma_f16 v39, v39, v92, -v84
	v_mul_f16_sdwa v84, v40, v93 dst_sel:DWORD dst_unused:UNUSED_PAD src0_sel:DWORD src1_sel:WORD_1
	v_fmac_f16_e32 v85, v48, v92
	s_waitcnt vmcnt(2)
	v_mul_f16_sdwa v48, v86, v94 dst_sel:DWORD dst_unused:UNUSED_PAD src0_sel:DWORD src1_sel:WORD_1
	v_fma_f16 v40, v40, v93, -v87
	v_lshrrev_b32_e32 v87, 16, v82
	v_fmac_f16_e32 v84, v83, v93
	s_waitcnt lgkmcnt(0)
	v_lshrrev_b32_e32 v83, 16, v88
	v_fma_f16 v48, v81, v94, -v48
	v_mul_f16_sdwa v81, v81, v94 dst_sel:DWORD dst_unused:UNUSED_PAD src0_sel:DWORD src1_sel:WORD_1
	s_waitcnt vmcnt(1)
	v_mul_f16_sdwa v89, v87, v95 dst_sel:DWORD dst_unused:UNUSED_PAD src0_sel:DWORD src1_sel:WORD_1
	v_mul_f16_sdwa v90, v82, v95 dst_sel:DWORD dst_unused:UNUSED_PAD src0_sel:DWORD src1_sel:WORD_1
	s_waitcnt vmcnt(0)
	v_mul_f16_sdwa v91, v83, v96 dst_sel:DWORD dst_unused:UNUSED_PAD src0_sel:DWORD src1_sel:WORD_1
	v_mul_f16_sdwa v92, v88, v96 dst_sel:DWORD dst_unused:UNUSED_PAD src0_sel:DWORD src1_sel:WORD_1
	v_fmac_f16_e32 v81, v86, v94
	v_fma_f16 v82, v82, v95, -v89
	v_fmac_f16_e32 v90, v87, v95
	v_fma_f16 v86, v88, v96, -v91
	v_fmac_f16_e32 v92, v83, v96
	v_pack_b32_f16 v39, v39, v85
	v_pack_b32_f16 v40, v40, v84
	;; [unrolled: 1-line block ×5, first 2 shown]
	ds_write2_b32 v47, v29, v30 offset0:56 offset1:175
	ds_write2_b32 v43, v37, v38 offset0:38 offset1:157
	;; [unrolled: 1-line block ×4, first 2 shown]
	ds_write_b32 v49, v82 offset:7616
	s_waitcnt lgkmcnt(0)
	s_barrier
	buffer_gl0_inv
	ds_read2_b32 v[91:92], v49 offset1:119
	ds_read2_b32 v[94:95], v41 offset0:110 offset1:229
	ds_read2_b32 v[41:42], v42 offset0:92 offset1:211
	;; [unrolled: 1-line block ×3, first 2 shown]
	v_mov_b32_e32 v86, 0xb5c8
	v_mov_b32_e32 v83, 0x3b76
	;; [unrolled: 1-line block ×5, first 2 shown]
	s_waitcnt lgkmcnt(3)
	v_pk_add_f16 v29, v92, v91
	s_waitcnt lgkmcnt(2)
	v_pk_add_f16 v29, v29, v94
	v_pk_add_f16 v39, v29, v95
	ds_read2_b32 v[29:30], v47 offset0:56 offset1:175
	s_waitcnt lgkmcnt(2)
	v_pk_add_f16 v39, v39, v41
	v_pk_add_f16 v44, v39, v42
	ds_read2_b32 v[39:40], v43 offset0:38 offset1:157
	;; [unrolled: 4-line block ×3, first 2 shown]
	ds_read_b32 v48, v49 offset:7616
	ds_read2_b32 v[97:98], v46 offset0:130 offset1:249
	s_waitcnt lgkmcnt(0)
	s_barrier
	v_pk_add_f16 v47, v47, v29
	buffer_gl0_inv
	v_pk_add_f16 v47, v47, v30
	v_pk_add_f16 v46, v47, v39
	v_pk_add_f16 v46, v46, v40
	v_pk_add_f16 v93, v92, v48 neg_lo:[0,1] neg_hi:[0,1]
	v_pk_add_f16 v99, v48, v92
	v_mov_b32_e32 v92, 0xb964
	v_pk_add_f16 v128, v94, v98 neg_lo:[0,1] neg_hi:[0,1]
	v_pk_add_f16 v46, v46, v43
	v_mul_f16_sdwa v47, v93, v86 dst_sel:DWORD dst_unused:UNUSED_PAD src0_sel:WORD_1 src1_sel:DWORD
	v_mul_f16_sdwa v81, v99, v83 dst_sel:DWORD dst_unused:UNUSED_PAD src0_sel:WORD_1 src1_sel:DWORD
	v_pk_mul_f16 v129, 0xb1e1, v93 op_sel_hi:[0,1]
	v_pk_add_f16 v46, v46, v44
	v_fmamk_f16 v82, v99, 0x3b76, v47
	v_fmamk_f16 v84, v93, 0x35c8, v81
	v_fma_f16 v47, v99, 0x3b76, -v47
	v_fmac_f16_e32 v81, 0xb5c8, v93
	v_pk_add_f16 v46, v46, v97
	v_add_f16_e32 v100, v82, v91
	v_mul_f16_sdwa v82, v93, v92 dst_sel:DWORD dst_unused:UNUSED_PAD src0_sel:WORD_1 src1_sel:DWORD
	v_add_f16_sdwa v101, v84, v91 dst_sel:DWORD dst_unused:UNUSED_PAD src0_sel:DWORD src1_sel:WORD_1
	v_add_f16_e32 v102, v47, v91
	v_pk_add_f16 v46, v46, v98
	v_add_f16_sdwa v103, v81, v91 dst_sel:DWORD dst_unused:UNUSED_PAD src0_sel:DWORD src1_sel:WORD_1
	v_fmamk_f16 v85, v99, 0x39e9, v82
	v_mov_b32_e32 v47, 0x3722
	v_fma_f16 v82, v99, 0x39e9, -v82
	v_pk_add_f16 v46, v46, v48
	v_mov_b32_e32 v48, 0x39e9
	v_add_f16_e32 v104, v85, v91
	v_mul_f16_sdwa v85, v93, v96 dst_sel:DWORD dst_unused:UNUSED_PAD src0_sel:WORD_1 src1_sel:DWORD
	v_add_f16_e32 v106, v82, v91
	v_pk_add_f16 v98, v98, v94
	v_mul_f16_sdwa v84, v99, v48 dst_sel:DWORD dst_unused:UNUSED_PAD src0_sel:WORD_1 src1_sel:DWORD
	v_mul_f16_sdwa v94, v128, v92 dst_sel:DWORD dst_unused:UNUSED_PAD src0_sel:WORD_1 src1_sel:DWORD
	v_fmamk_f16 v87, v99, 0x3722, v85
	v_fma_f16 v85, v99, 0x3722, -v85
	v_fmamk_f16 v81, v93, 0x3964, v84
	v_fmac_f16_e32 v84, 0xb964, v93
	v_add_f16_e32 v108, v87, v91
	v_mul_f16_sdwa v87, v99, v89 dst_sel:DWORD dst_unused:UNUSED_PAD src0_sel:WORD_1 src1_sel:DWORD
	v_add_f16_e32 v110, v85, v91
	v_add_f16_sdwa v105, v81, v91 dst_sel:DWORD dst_unused:UNUSED_PAD src0_sel:DWORD src1_sel:WORD_1
	v_mul_f16_sdwa v81, v99, v47 dst_sel:DWORD dst_unused:UNUSED_PAD src0_sel:WORD_1 src1_sel:DWORD
	v_add_f16_sdwa v107, v84, v91 dst_sel:DWORD dst_unused:UNUSED_PAD src0_sel:DWORD src1_sel:WORD_1
	v_mul_f16_sdwa v84, v93, v90 dst_sel:DWORD dst_unused:UNUSED_PAD src0_sel:WORD_1 src1_sel:DWORD
	v_fmamk_f16 v85, v93, 0x3bf7, v87
	v_fmac_f16_e32 v87, 0xbbf7, v93
	v_fmamk_f16 v82, v93, 0x3b29, v81
	v_fmac_f16_e32 v81, 0xbb29, v93
	v_fmamk_f16 v88, v99, 0x2de8, v84
	v_fma_f16 v84, v99, 0x2de8, -v84
	v_add_f16_sdwa v113, v85, v91 dst_sel:DWORD dst_unused:UNUSED_PAD src0_sel:DWORD src1_sel:WORD_1
	v_add_f16_sdwa v109, v82, v91 dst_sel:DWORD dst_unused:UNUSED_PAD src0_sel:DWORD src1_sel:WORD_1
	v_mov_b32_e32 v82, 0xbbb2
	v_add_f16_sdwa v111, v81, v91 dst_sel:DWORD dst_unused:UNUSED_PAD src0_sel:DWORD src1_sel:WORD_1
	v_mov_b32_e32 v81, 0xb461
	v_add_f16_e32 v112, v88, v91
	v_add_f16_sdwa v116, v87, v91 dst_sel:DWORD dst_unused:UNUSED_PAD src0_sel:DWORD src1_sel:WORD_1
	v_mul_f16_sdwa v88, v93, v82 dst_sel:DWORD dst_unused:UNUSED_PAD src0_sel:WORD_1 src1_sel:DWORD
	v_add_f16_e32 v115, v84, v91
	v_mul_f16_sdwa v114, v99, v81 dst_sel:DWORD dst_unused:UNUSED_PAD src0_sel:WORD_1 src1_sel:DWORD
	v_mov_b32_e32 v84, 0xba62
	v_fmamk_f16 v130, v98, 0x39e9, v94
	v_fmamk_f16 v85, v99, 0xb461, v88
	v_fma_f16 v88, v99, 0xb461, -v88
	v_fmamk_f16 v87, v93, 0x3bb2, v114
	v_mul_f16_sdwa v118, v93, v84 dst_sel:DWORD dst_unused:UNUSED_PAD src0_sel:WORD_1 src1_sel:DWORD
	v_fmac_f16_e32 v114, 0xbbb2, v93
	v_add_f16_e32 v117, v85, v91
	v_mov_b32_e32 v85, 0xb8d2
	v_add_f16_sdwa v119, v87, v91 dst_sel:DWORD dst_unused:UNUSED_PAD src0_sel:DWORD src1_sel:WORD_1
	v_add_f16_e32 v120, v88, v91
	v_mov_b32_e32 v88, 0xb836
	v_mov_b32_e32 v87, 0xbacd
	v_mul_f16_sdwa v122, v99, v85 dst_sel:DWORD dst_unused:UNUSED_PAD src0_sel:WORD_1 src1_sel:DWORD
	v_fmamk_f16 v121, v99, 0xb8d2, v118
	v_fma_f16 v118, v99, 0xb8d2, -v118
	v_mul_f16_sdwa v124, v93, v88 dst_sel:DWORD dst_unused:UNUSED_PAD src0_sel:WORD_1 src1_sel:DWORD
	v_mul_f16_sdwa v125, v99, v87 dst_sel:DWORD dst_unused:UNUSED_PAD src0_sel:WORD_1 src1_sel:DWORD
	v_fmamk_f16 v123, v93, 0x3a62, v122
	v_fmac_f16_e32 v122, 0xba62, v93
	v_add_f16_sdwa v114, v114, v91 dst_sel:DWORD dst_unused:UNUSED_PAD src0_sel:DWORD src1_sel:WORD_1
	v_fmamk_f16 v126, v99, 0xbacd, v124
	v_fmamk_f16 v127, v93, 0x3836, v125
	v_fma_f16 v124, v99, 0xbacd, -v124
	v_fmac_f16_e32 v125, 0xb836, v93
	v_pk_fma_f16 v93, 0xbbdd, v99, v129 op_sel:[0,0,1] op_sel_hi:[0,1,0]
	v_pk_fma_f16 v99, 0xbbdd, v99, v129 op_sel:[0,0,1] op_sel_hi:[0,1,0] neg_lo:[0,0,1] neg_hi:[0,0,1]
	v_mul_f16_sdwa v129, v98, v48 dst_sel:DWORD dst_unused:UNUSED_PAD src0_sel:WORD_1 src1_sel:DWORD
	v_add_f16_e32 v121, v121, v91
	v_add_f16_sdwa v123, v123, v91 dst_sel:DWORD dst_unused:UNUSED_PAD src0_sel:DWORD src1_sel:WORD_1
	v_add_f16_e32 v118, v118, v91
	v_add_f16_sdwa v122, v122, v91 dst_sel:DWORD dst_unused:UNUSED_PAD src0_sel:DWORD src1_sel:WORD_1
	;; [unrolled: 2-line block ×4, first 2 shown]
	v_pk_add_f16 v131, v93, v91
	v_pk_add_f16 v99, v99, v91
	v_fmamk_f16 v91, v128, 0x3964, v129
	v_add_f16_e32 v100, v130, v100
	v_mul_f16_sdwa v93, v128, v90 dst_sel:DWORD dst_unused:UNUSED_PAD src0_sel:WORD_1 src1_sel:DWORD
	v_fma_f16 v94, v98, 0x39e9, -v94
	v_mul_f16_sdwa v130, v98, v89 dst_sel:DWORD dst_unused:UNUSED_PAD src0_sel:WORD_1 src1_sel:DWORD
	v_add_f16_e32 v101, v91, v101
	v_fmac_f16_e32 v129, 0xb964, v128
	v_fmamk_f16 v91, v98, 0x2de8, v93
	v_add_f16_e32 v102, v94, v102
	v_fmamk_f16 v94, v128, 0x3bf7, v130
	v_fma_f16 v93, v98, 0x2de8, -v93
	v_add_f16_e32 v103, v129, v103
	v_add_f16_e32 v104, v91, v104
	v_mul_f16_sdwa v91, v128, v84 dst_sel:DWORD dst_unused:UNUSED_PAD src0_sel:WORD_1 src1_sel:DWORD
	v_add_f16_e32 v105, v94, v105
	v_mul_f16_sdwa v129, v98, v85 dst_sel:DWORD dst_unused:UNUSED_PAD src0_sel:WORD_1 src1_sel:DWORD
	v_fmac_f16_e32 v130, 0xbbf7, v128
	v_mov_b32_e32 v94, 0xb1e1
	v_add_f16_e32 v106, v93, v106
	v_fmamk_f16 v132, v98, 0xb8d2, v91
	v_mov_b32_e32 v93, 0xbbdd
	v_fmamk_f16 v133, v128, 0x3a62, v129
	v_add_f16_e32 v107, v130, v107
	v_mul_f16_sdwa v130, v128, v94 dst_sel:DWORD dst_unused:UNUSED_PAD src0_sel:WORD_1 src1_sel:DWORD
	v_add_f16_e32 v108, v132, v108
	v_mul_f16_sdwa v132, v98, v93 dst_sel:DWORD dst_unused:UNUSED_PAD src0_sel:WORD_1 src1_sel:DWORD
	v_add_f16_e32 v109, v133, v109
	v_fma_f16 v91, v98, 0xb8d2, -v91
	v_fmac_f16_e32 v129, 0xba62, v128
	v_fmamk_f16 v133, v98, 0xbbdd, v130
	v_fmamk_f16 v134, v128, 0x31e1, v132
	v_fma_f16 v130, v98, 0xbbdd, -v130
	v_add_f16_e32 v110, v91, v110
	v_add_f16_e32 v111, v129, v111
	;; [unrolled: 1-line block ×3, first 2 shown]
	v_mul_f16_sdwa v91, v128, v135 dst_sel:DWORD dst_unused:UNUSED_PAD src0_sel:WORD_1 src1_sel:DWORD
	v_mul_f16_sdwa v129, v98, v87 dst_sel:DWORD dst_unused:UNUSED_PAD src0_sel:WORD_1 src1_sel:DWORD
	v_mov_b32_e32 v133, 0x3bb2
	v_add_f16_e32 v113, v134, v113
	v_fmac_f16_e32 v132, 0xb1e1, v128
	v_fmamk_f16 v134, v98, 0xbacd, v91
	v_fmamk_f16 v136, v128, 0xb836, v129
	v_add_f16_e32 v115, v130, v115
	v_mul_f16_sdwa v130, v128, v133 dst_sel:DWORD dst_unused:UNUSED_PAD src0_sel:WORD_1 src1_sel:DWORD
	v_add_f16_e32 v116, v132, v116
	v_add_f16_e32 v117, v134, v117
	;; [unrolled: 1-line block ×3, first 2 shown]
	v_fma_f16 v132, v98, 0xbacd, -v91
	v_fmac_f16_e32 v129, 0x3836, v128
	v_fmamk_f16 v134, v98, 0xb461, v130
	v_mov_b32_e32 v91, 0x3b29
	v_mul_f16_sdwa v136, v98, v81 dst_sel:DWORD dst_unused:UNUSED_PAD src0_sel:WORD_1 src1_sel:DWORD
	v_add_f16_e32 v120, v132, v120
	v_add_f16_e32 v114, v129, v114
	;; [unrolled: 1-line block ×3, first 2 shown]
	v_mul_f16_sdwa v129, v128, v91 dst_sel:DWORD dst_unused:UNUSED_PAD src0_sel:WORD_1 src1_sel:DWORD
	v_fmamk_f16 v132, v128, 0xbbb2, v136
	v_mul_f16_sdwa v134, v98, v47 dst_sel:DWORD dst_unused:UNUSED_PAD src0_sel:WORD_1 src1_sel:DWORD
	v_fma_f16 v130, v98, 0xb461, -v130
	v_fmac_f16_e32 v136, 0x3bb2, v128
	v_fmamk_f16 v137, v98, 0x3722, v129
	v_add_f16_e32 v123, v132, v123
	v_fmamk_f16 v132, v128, 0xbb29, v134
	v_add_f16_e32 v118, v130, v118
	v_fma_f16 v129, v98, 0x3722, -v129
	v_pk_add_f16 v130, v95, v97 neg_lo:[0,1] neg_hi:[0,1]
	v_pk_add_f16 v97, v97, v95
	v_pk_mul_f16 v95, 0x35c8, v128 op_sel_hi:[0,1]
	v_add_f16_e32 v127, v132, v127
	v_add_f16_e32 v124, v129, v124
	v_fmac_f16_e32 v134, 0x3b29, v128
	v_mul_f16_sdwa v128, v130, v96 dst_sel:DWORD dst_unused:UNUSED_PAD src0_sel:WORD_1 src1_sel:DWORD
	v_mul_f16_sdwa v129, v97, v47 dst_sel:DWORD dst_unused:UNUSED_PAD src0_sel:WORD_1 src1_sel:DWORD
	v_pk_fma_f16 v132, 0x3b76, v98, v95 op_sel:[0,0,1] op_sel_hi:[0,1,0]
	v_pk_fma_f16 v95, 0x3b76, v98, v95 op_sel:[0,0,1] op_sel_hi:[0,1,0] neg_lo:[0,0,1] neg_hi:[0,0,1]
	v_add_f16_e32 v98, v134, v125
	v_fmamk_f16 v125, v97, 0x3722, v128
	v_fmamk_f16 v134, v130, 0x3b29, v129
	v_fmac_f16_e32 v129, 0xbb29, v130
	v_pk_add_f16 v99, v95, v99
	v_mul_f16_sdwa v95, v130, v84 dst_sel:DWORD dst_unused:UNUSED_PAD src0_sel:WORD_1 src1_sel:DWORD
	v_add_f16_e32 v100, v125, v100
	v_add_f16_e32 v101, v134, v101
	v_fma_f16 v125, v97, 0x3722, -v128
	v_mul_f16_sdwa v134, v97, v85 dst_sel:DWORD dst_unused:UNUSED_PAD src0_sel:WORD_1 src1_sel:DWORD
	v_fmamk_f16 v128, v97, 0xb8d2, v95
	v_pk_add_f16 v131, v132, v131
	v_mov_b32_e32 v132, 0x31e1
	v_add_f16_e32 v103, v129, v103
	v_mul_f16_sdwa v129, v97, v93 dst_sel:DWORD dst_unused:UNUSED_PAD src0_sel:WORD_1 src1_sel:DWORD
	v_add_f16_e32 v104, v128, v104
	v_fmamk_f16 v128, v130, 0x3a62, v134
	v_add_f16_e32 v102, v125, v102
	v_mul_f16_sdwa v125, v130, v132 dst_sel:DWORD dst_unused:UNUSED_PAD src0_sel:WORD_1 src1_sel:DWORD
	v_fma_f16 v95, v97, 0xb8d2, -v95
	v_fmac_f16_e32 v134, 0xba62, v130
	v_add_f16_e32 v105, v128, v105
	v_fmamk_f16 v128, v130, 0xb1e1, v129
	v_fmamk_f16 v132, v97, 0xbbdd, v125
	v_fma_f16 v125, v97, 0xbbdd, -v125
	v_add_f16_e32 v106, v95, v106
	v_fmac_f16_e32 v129, 0x31e1, v130
	v_add_f16_e32 v109, v128, v109
	v_mul_f16_sdwa v128, v97, v81 dst_sel:DWORD dst_unused:UNUSED_PAD src0_sel:WORD_1 src1_sel:DWORD
	v_add_f16_e32 v108, v132, v108
	v_mul_f16_sdwa v132, v130, v133 dst_sel:DWORD dst_unused:UNUSED_PAD src0_sel:WORD_1 src1_sel:DWORD
	v_mov_b32_e32 v95, 0x3964
	v_add_f16_e32 v110, v125, v110
	v_fmamk_f16 v125, v130, 0xbbb2, v128
	v_add_f16_e32 v107, v134, v107
	v_fmamk_f16 v134, v97, 0xb461, v132
	v_add_f16_e32 v111, v129, v111
	v_mul_f16_sdwa v129, v130, v95 dst_sel:DWORD dst_unused:UNUSED_PAD src0_sel:WORD_1 src1_sel:DWORD
	v_fma_f16 v132, v97, 0xb461, -v132
	v_fmac_f16_e32 v128, 0x3bb2, v130
	v_add_f16_e32 v113, v125, v113
	v_mul_f16_sdwa v125, v97, v48 dst_sel:DWORD dst_unused:UNUSED_PAD src0_sel:WORD_1 src1_sel:DWORD
	v_add_f16_e32 v112, v134, v112
	v_fmamk_f16 v134, v97, 0x39e9, v129
	v_add_f16_e32 v115, v132, v115
	v_add_f16_e32 v116, v128, v116
	v_mul_f16_sdwa v128, v130, v86 dst_sel:DWORD dst_unused:UNUSED_PAD src0_sel:WORD_1 src1_sel:DWORD
	v_fmamk_f16 v132, v130, 0xb964, v125
	v_add_f16_e32 v117, v134, v117
	v_fma_f16 v129, v97, 0x39e9, -v129
	v_fmac_f16_e32 v125, 0x3964, v130
	v_fmamk_f16 v134, v97, 0x3b76, v128
	v_add_f16_e32 v119, v132, v119
	v_mul_f16_sdwa v132, v97, v83 dst_sel:DWORD dst_unused:UNUSED_PAD src0_sel:WORD_1 src1_sel:DWORD
	v_add_f16_e32 v120, v129, v120
	v_fma_f16 v128, v97, 0x3b76, -v128
	v_add_f16_e32 v121, v134, v121
	v_mul_f16_sdwa v134, v97, v89 dst_sel:DWORD dst_unused:UNUSED_PAD src0_sel:WORD_1 src1_sel:DWORD
	v_fmamk_f16 v129, v130, 0x35c8, v132
	v_add_f16_e32 v114, v125, v114
	v_mul_f16_sdwa v125, v130, v90 dst_sel:DWORD dst_unused:UNUSED_PAD src0_sel:WORD_1 src1_sel:DWORD
	v_add_f16_e32 v118, v128, v118
	v_pk_add_f16 v128, v41, v44 neg_lo:[0,1] neg_hi:[0,1]
	v_add_f16_e32 v123, v129, v123
	v_fmamk_f16 v129, v130, 0x3bf7, v134
	v_add_f16_e32 v122, v136, v122
	v_fmamk_f16 v136, v97, 0x2de8, v125
	v_fma_f16 v125, v97, 0x2de8, -v125
	v_pk_add_f16 v44, v44, v41
	v_add_f16_e32 v127, v129, v127
	v_pk_mul_f16 v129, 0xb836, v130 op_sel_hi:[0,1]
	v_mul_f16_sdwa v41, v128, v90 dst_sel:DWORD dst_unused:UNUSED_PAD src0_sel:WORD_1 src1_sel:DWORD
	v_fmac_f16_e32 v132, 0xb5c8, v130
	v_fmac_f16_e32 v134, 0xbbf7, v130
	v_add_f16_e32 v124, v125, v124
	v_pk_fma_f16 v125, 0xbacd, v97, v129 op_sel:[0,0,1] op_sel_hi:[0,1,0]
	v_pk_fma_f16 v97, 0xbacd, v97, v129 op_sel:[0,0,1] op_sel_hi:[0,1,0] neg_lo:[0,0,1] neg_hi:[0,0,1]
	v_fmamk_f16 v129, v44, 0x2de8, v41
	v_mul_f16_sdwa v130, v44, v89 dst_sel:DWORD dst_unused:UNUSED_PAD src0_sel:WORD_1 src1_sel:DWORD
	v_fma_f16 v41, v44, 0x2de8, -v41
	v_pk_add_f16 v125, v125, v131
	v_pk_add_f16 v97, v97, v99
	v_add_f16_e32 v99, v129, v100
	v_mul_f16_sdwa v100, v128, v94 dst_sel:DWORD dst_unused:UNUSED_PAD src0_sel:WORD_1 src1_sel:DWORD
	v_fmamk_f16 v129, v128, 0x3bf7, v130
	v_mul_f16_sdwa v131, v44, v93 dst_sel:DWORD dst_unused:UNUSED_PAD src0_sel:WORD_1 src1_sel:DWORD
	v_fmac_f16_e32 v130, 0xbbf7, v128
	v_add_f16_e32 v122, v132, v122
	v_fmamk_f16 v132, v44, 0xbbdd, v100
	v_add_f16_e32 v101, v129, v101
	v_fmamk_f16 v129, v128, 0x31e1, v131
	v_add_f16_e32 v102, v41, v102
	v_add_f16_e32 v103, v130, v103
	v_mul_f16_sdwa v130, v128, v133 dst_sel:DWORD dst_unused:UNUSED_PAD src0_sel:WORD_1 src1_sel:DWORD
	v_fma_f16 v100, v44, 0xbbdd, -v100
	v_fmac_f16_e32 v131, 0xb1e1, v128
	v_mov_b32_e32 v41, 0x35c8
	v_add_f16_e32 v104, v132, v104
	v_add_f16_e32 v105, v129, v105
	v_fmamk_f16 v129, v44, 0xb461, v130
	v_mul_f16_sdwa v132, v44, v81 dst_sel:DWORD dst_unused:UNUSED_PAD src0_sel:WORD_1 src1_sel:DWORD
	v_add_f16_e32 v100, v100, v106
	v_add_f16_e32 v106, v131, v107
	v_mul_f16_sdwa v107, v128, v41 dst_sel:DWORD dst_unused:UNUSED_PAD src0_sel:WORD_1 src1_sel:DWORD
	v_add_f16_e32 v98, v134, v98
	v_add_f16_e32 v108, v129, v108
	v_fmamk_f16 v129, v128, 0xbbb2, v132
	v_fma_f16 v130, v44, 0xb461, -v130
	v_fmamk_f16 v131, v44, 0x3b76, v107
	v_mul_f16_sdwa v134, v44, v83 dst_sel:DWORD dst_unused:UNUSED_PAD src0_sel:WORD_1 src1_sel:DWORD
	v_fmac_f16_e32 v132, 0x3bb2, v128
	v_add_f16_e32 v109, v129, v109
	v_add_f16_e32 v110, v130, v110
	;; [unrolled: 1-line block ×3, first 2 shown]
	v_fmamk_f16 v129, v128, 0xb5c8, v134
	v_mul_f16_sdwa v130, v128, v96 dst_sel:DWORD dst_unused:UNUSED_PAD src0_sel:WORD_1 src1_sel:DWORD
	v_mul_f16_sdwa v131, v44, v47 dst_sel:DWORD dst_unused:UNUSED_PAD src0_sel:WORD_1 src1_sel:DWORD
	v_fma_f16 v107, v44, 0x3b76, -v107
	v_fmac_f16_e32 v134, 0x35c8, v128
	v_add_f16_e32 v111, v132, v111
	v_add_f16_e32 v113, v129, v113
	v_fmamk_f16 v129, v44, 0x3722, v130
	v_fmamk_f16 v132, v128, 0x3b29, v131
	v_add_f16_e32 v107, v107, v115
	v_add_f16_e32 v115, v134, v116
	v_mul_f16_sdwa v116, v128, v88 dst_sel:DWORD dst_unused:UNUSED_PAD src0_sel:WORD_1 src1_sel:DWORD
	v_add_f16_e32 v117, v129, v117
	v_add_f16_e32 v119, v132, v119
	v_fma_f16 v129, v44, 0x3722, -v130
	v_fmac_f16_e32 v131, 0xbb29, v128
	v_fmamk_f16 v130, v44, 0xbacd, v116
	v_mul_f16_sdwa v132, v44, v87 dst_sel:DWORD dst_unused:UNUSED_PAD src0_sel:WORD_1 src1_sel:DWORD
	v_mov_b32_e32 v134, 0x3a62
	v_add_f16_e32 v126, v137, v126
	v_add_f16_e32 v120, v129, v120
	;; [unrolled: 1-line block ×4, first 2 shown]
	v_fmamk_f16 v129, v128, 0x3836, v132
	v_mul_f16_sdwa v130, v128, v134 dst_sel:DWORD dst_unused:UNUSED_PAD src0_sel:WORD_1 src1_sel:DWORD
	v_fma_f16 v116, v44, 0xbacd, -v116
	v_mul_f16_sdwa v131, v44, v85 dst_sel:DWORD dst_unused:UNUSED_PAD src0_sel:WORD_1 src1_sel:DWORD
	v_add_f16_e32 v126, v136, v126
	v_add_f16_e32 v123, v129, v123
	v_fmamk_f16 v129, v44, 0xb8d2, v130
	v_add_f16_e32 v116, v116, v118
	v_fmamk_f16 v118, v128, 0xba62, v131
	v_fmac_f16_e32 v132, 0xb836, v128
	v_fma_f16 v130, v44, 0xb8d2, -v130
	v_add_f16_e32 v126, v129, v126
	v_pk_add_f16 v129, v42, v43 neg_lo:[0,1] neg_hi:[0,1]
	v_add_f16_e32 v118, v118, v127
	v_pk_mul_f16 v127, 0x3964, v128 op_sel_hi:[0,1]
	v_pk_add_f16 v42, v43, v42
	v_fmac_f16_e32 v131, 0x3a62, v128
	v_mul_f16_sdwa v43, v129, v82 dst_sel:DWORD dst_unused:UNUSED_PAD src0_sel:WORD_1 src1_sel:DWORD
	v_add_f16_e32 v124, v130, v124
	v_pk_fma_f16 v128, 0x39e9, v44, v127 op_sel:[0,0,1] op_sel_hi:[0,1,0]
	v_pk_fma_f16 v44, 0x39e9, v44, v127 op_sel:[0,0,1] op_sel_hi:[0,1,0] neg_lo:[0,0,1] neg_hi:[0,0,1]
	v_mul_f16_sdwa v127, v42, v81 dst_sel:DWORD dst_unused:UNUSED_PAD src0_sel:WORD_1 src1_sel:DWORD
	v_fmamk_f16 v130, v42, 0xb461, v43
	v_fma_f16 v43, v42, 0xb461, -v43
	v_pk_add_f16 v125, v128, v125
	v_pk_add_f16 v44, v44, v97
	v_fmamk_f16 v97, v129, 0x3bb2, v127
	v_mul_f16_sdwa v128, v129, v135 dst_sel:DWORD dst_unused:UNUSED_PAD src0_sel:WORD_1 src1_sel:DWORD
	v_fmac_f16_e32 v127, 0xbbb2, v129
	v_add_f16_e32 v99, v130, v99
	v_add_f16_e32 v43, v43, v102
	;; [unrolled: 1-line block ×3, first 2 shown]
	v_mul_f16_sdwa v101, v42, v87 dst_sel:DWORD dst_unused:UNUSED_PAD src0_sel:WORD_1 src1_sel:DWORD
	v_fmamk_f16 v130, v42, 0xbacd, v128
	v_add_f16_e32 v102, v127, v103
	v_mul_f16_sdwa v103, v129, v95 dst_sel:DWORD dst_unused:UNUSED_PAD src0_sel:WORD_1 src1_sel:DWORD
	v_fma_f16 v128, v42, 0xbacd, -v128
	v_fmamk_f16 v127, v129, 0xb836, v101
	v_add_f16_e32 v104, v130, v104
	v_fmac_f16_e32 v101, 0x3836, v129
	v_fmamk_f16 v130, v42, 0x39e9, v103
	v_add_f16_e32 v100, v128, v100
	v_add_f16_e32 v105, v127, v105
	v_mul_f16_sdwa v127, v42, v48 dst_sel:DWORD dst_unused:UNUSED_PAD src0_sel:WORD_1 src1_sel:DWORD
	v_add_f16_e32 v101, v101, v106
	v_add_f16_e32 v106, v130, v108
	v_mul_f16_sdwa v96, v129, v96 dst_sel:DWORD dst_unused:UNUSED_PAD src0_sel:WORD_1 src1_sel:DWORD
	v_mul_f16_sdwa v128, v42, v47 dst_sel:DWORD dst_unused:UNUSED_PAD src0_sel:WORD_1 src1_sel:DWORD
	v_fmamk_f16 v108, v129, 0xb964, v127
	v_fma_f16 v103, v42, 0x39e9, -v103
	v_fmac_f16_e32 v127, 0x3964, v129
	v_fmamk_f16 v130, v42, 0x3722, v96
	v_fma_f16 v96, v42, 0x3722, -v96
	v_add_f16_e32 v108, v108, v109
	v_fmamk_f16 v109, v129, 0x3b29, v128
	v_add_f16_e32 v103, v103, v110
	v_add_f16_e32 v110, v127, v111
	;; [unrolled: 1-line block ×3, first 2 shown]
	v_mul_f16_sdwa v112, v129, v94 dst_sel:DWORD dst_unused:UNUSED_PAD src0_sel:WORD_1 src1_sel:DWORD
	v_add_f16_e32 v109, v109, v113
	v_fmac_f16_e32 v128, 0xbb29, v129
	v_mov_b32_e32 v113, 0x3bf7
	v_mul_f16_sdwa v130, v42, v93 dst_sel:DWORD dst_unused:UNUSED_PAD src0_sel:WORD_1 src1_sel:DWORD
	v_fmamk_f16 v127, v42, 0xbbdd, v112
	v_add_f16_e32 v96, v96, v107
	v_add_f16_e32 v107, v128, v115
	v_mul_f16_sdwa v115, v129, v113 dst_sel:DWORD dst_unused:UNUSED_PAD src0_sel:WORD_1 src1_sel:DWORD
	v_add_f16_e32 v98, v131, v98
	v_add_f16_e32 v117, v127, v117
	v_fmamk_f16 v127, v129, 0x31e1, v130
	v_fma_f16 v112, v42, 0xbbdd, -v112
	v_fmamk_f16 v128, v42, 0x2de8, v115
	v_mul_f16_sdwa v131, v42, v89 dst_sel:DWORD dst_unused:UNUSED_PAD src0_sel:WORD_1 src1_sel:DWORD
	v_add_f16_e32 v122, v132, v122
	v_add_f16_e32 v119, v127, v119
	;; [unrolled: 1-line block ×4, first 2 shown]
	v_fmamk_f16 v121, v129, 0xbbf7, v131
	v_mul_f16_sdwa v127, v129, v86 dst_sel:DWORD dst_unused:UNUSED_PAD src0_sel:WORD_1 src1_sel:DWORD
	v_fma_f16 v115, v42, 0x2de8, -v115
	v_fmac_f16_e32 v131, 0x3bf7, v129
	v_fmac_f16_e32 v130, 0xb1e1, v129
	v_add_f16_e32 v121, v121, v123
	v_fmamk_f16 v123, v42, 0x3b76, v127
	v_mul_f16_sdwa v128, v42, v83 dst_sel:DWORD dst_unused:UNUSED_PAD src0_sel:WORD_1 src1_sel:DWORD
	v_add_f16_e32 v115, v115, v116
	v_add_f16_e32 v116, v131, v122
	v_fma_f16 v122, v42, 0x3b76, -v127
	v_add_f16_e32 v123, v123, v126
	v_pk_add_f16 v126, v37, v40 neg_lo:[0,1] neg_hi:[0,1]
	v_pk_mul_f16 v127, 0xba62, v129 op_sel_hi:[0,1]
	v_pk_add_f16 v37, v40, v37
	v_add_f16_e32 v114, v130, v114
	v_fmamk_f16 v130, v129, 0x35c8, v128
	v_add_f16_e32 v122, v122, v124
	v_fmac_f16_e32 v128, 0xb5c8, v129
	v_mul_f16_sdwa v40, v126, v84 dst_sel:DWORD dst_unused:UNUSED_PAD src0_sel:WORD_1 src1_sel:DWORD
	v_pk_fma_f16 v124, 0xb8d2, v42, v127 op_sel:[0,0,1] op_sel_hi:[0,1,0]
	v_pk_fma_f16 v42, 0xb8d2, v42, v127 op_sel:[0,0,1] op_sel_hi:[0,1,0] neg_lo:[0,0,1] neg_hi:[0,0,1]
	v_mul_f16_sdwa v127, v37, v85 dst_sel:DWORD dst_unused:UNUSED_PAD src0_sel:WORD_1 src1_sel:DWORD
	v_add_f16_e32 v98, v128, v98
	v_fmamk_f16 v128, v37, 0xb8d2, v40
	v_pk_add_f16 v124, v124, v125
	v_pk_add_f16 v42, v42, v44
	v_fmamk_f16 v44, v126, 0x3a62, v127
	v_mul_f16_sdwa v125, v126, v133 dst_sel:DWORD dst_unused:UNUSED_PAD src0_sel:WORD_1 src1_sel:DWORD
	v_fma_f16 v40, v37, 0xb8d2, -v40
	v_fmac_f16_e32 v127, 0xba62, v126
	v_add_f16_e32 v99, v128, v99
	v_add_f16_e32 v44, v44, v97
	v_fmamk_f16 v97, v37, 0xb461, v125
	v_mul_f16_sdwa v128, v37, v81 dst_sel:DWORD dst_unused:UNUSED_PAD src0_sel:WORD_1 src1_sel:DWORD
	v_add_f16_e32 v40, v40, v43
	v_add_f16_e32 v43, v127, v102
	v_mul_f16_sdwa v102, v126, v86 dst_sel:DWORD dst_unused:UNUSED_PAD src0_sel:WORD_1 src1_sel:DWORD
	v_add_f16_e32 v97, v97, v104
	v_fmamk_f16 v104, v126, 0xbbb2, v128
	v_fma_f16 v125, v37, 0xb461, -v125
	v_mul_f16_sdwa v129, v37, v83 dst_sel:DWORD dst_unused:UNUSED_PAD src0_sel:WORD_1 src1_sel:DWORD
	v_fmamk_f16 v127, v37, 0x3b76, v102
	v_fma_f16 v102, v37, 0x3b76, -v102
	v_add_f16_e32 v104, v104, v105
	v_add_f16_e32 v100, v125, v100
	v_mul_f16_sdwa v125, v126, v88 dst_sel:DWORD dst_unused:UNUSED_PAD src0_sel:WORD_1 src1_sel:DWORD
	v_add_f16_e32 v105, v127, v106
	v_fmamk_f16 v106, v126, 0x35c8, v129
	v_fmac_f16_e32 v129, 0xb5c8, v126
	v_mul_f16_sdwa v127, v37, v87 dst_sel:DWORD dst_unused:UNUSED_PAD src0_sel:WORD_1 src1_sel:DWORD
	v_add_f16_e32 v102, v102, v103
	v_mul_f16_sdwa v113, v126, v113 dst_sel:DWORD dst_unused:UNUSED_PAD src0_sel:WORD_1 src1_sel:DWORD
	v_add_f16_e32 v106, v106, v108
	v_fmamk_f16 v108, v37, 0xbacd, v125
	v_add_f16_e32 v103, v129, v110
	v_fmamk_f16 v110, v126, 0x3836, v127
	v_fmac_f16_e32 v127, 0xb836, v126
	v_mul_f16_sdwa v92, v126, v92 dst_sel:DWORD dst_unused:UNUSED_PAD src0_sel:WORD_1 src1_sel:DWORD
	v_add_f16_e32 v108, v108, v111
	v_fma_f16 v111, v37, 0xbacd, -v125
	v_add_f16_e32 v109, v110, v109
	v_fmamk_f16 v110, v37, 0x2de8, v113
	v_mul_f16_sdwa v125, v37, v89 dst_sel:DWORD dst_unused:UNUSED_PAD src0_sel:WORD_1 src1_sel:DWORD
	v_add_f16_e32 v107, v127, v107
	v_add_f16_e32 v96, v111, v96
	v_fma_f16 v113, v37, 0x2de8, -v113
	v_add_f16_e32 v110, v110, v117
	v_fmamk_f16 v111, v126, 0xbbf7, v125
	v_fmac_f16_e32 v125, 0x3bf7, v126
	v_fmamk_f16 v117, v37, 0x39e9, v92
	v_mul_f16_sdwa v127, v37, v48 dst_sel:DWORD dst_unused:UNUSED_PAD src0_sel:WORD_1 src1_sel:DWORD
	v_add_f16_e32 v112, v113, v112
	v_add_f16_e32 v111, v111, v119
	;; [unrolled: 1-line block ×4, first 2 shown]
	v_fmamk_f16 v117, v126, 0x3964, v127
	v_mul_f16_sdwa v119, v126, v94 dst_sel:DWORD dst_unused:UNUSED_PAD src0_sel:WORD_1 src1_sel:DWORD
	v_fma_f16 v92, v37, 0x39e9, -v92
	v_mul_f16_sdwa v120, v37, v93 dst_sel:DWORD dst_unused:UNUSED_PAD src0_sel:WORD_1 src1_sel:DWORD
	v_add_f16_e32 v118, v130, v118
	v_add_f16_e32 v117, v117, v121
	v_fmamk_f16 v121, v37, 0xbbdd, v119
	v_add_f16_e32 v92, v92, v115
	v_fmamk_f16 v115, v126, 0x31e1, v120
	v_fma_f16 v119, v37, 0xbbdd, -v119
	v_fmac_f16_e32 v120, 0xb1e1, v126
	v_add_f16_e32 v121, v121, v123
	v_pk_add_f16 v123, v38, v39 neg_lo:[0,1] neg_hi:[0,1]
	v_add_f16_e32 v115, v115, v118
	v_pk_mul_f16 v118, 0x3b29, v126 op_sel_hi:[0,1]
	v_pk_add_f16 v38, v39, v38
	v_add_f16_e32 v119, v119, v122
	v_mul_f16_sdwa v39, v123, v88 dst_sel:DWORD dst_unused:UNUSED_PAD src0_sel:WORD_1 src1_sel:DWORD
	v_fmac_f16_e32 v128, 0x3bb2, v126
	v_pk_fma_f16 v122, 0x3722, v37, v118 op_sel:[0,0,1] op_sel_hi:[0,1,0]
	v_pk_fma_f16 v37, 0x3722, v37, v118 op_sel:[0,0,1] op_sel_hi:[0,1,0] neg_lo:[0,0,1] neg_hi:[0,0,1]
	v_mul_f16_sdwa v118, v38, v87 dst_sel:DWORD dst_unused:UNUSED_PAD src0_sel:WORD_1 src1_sel:DWORD
	v_fmamk_f16 v125, v38, 0xbacd, v39
	v_fma_f16 v39, v38, 0xbacd, -v39
	v_add_f16_e32 v98, v120, v98
	v_pk_add_f16 v37, v37, v42
	v_fmamk_f16 v42, v123, 0x3836, v118
	v_fmac_f16_e32 v118, 0xb836, v123
	v_pk_add_f16 v120, v122, v124
	v_mul_f16_sdwa v122, v123, v91 dst_sel:DWORD dst_unused:UNUSED_PAD src0_sel:WORD_1 src1_sel:DWORD
	v_add_f16_e32 v39, v39, v40
	v_add_f16_e32 v42, v42, v44
	v_mul_f16_sdwa v44, v38, v47 dst_sel:DWORD dst_unused:UNUSED_PAD src0_sel:WORD_1 src1_sel:DWORD
	v_add_f16_e32 v40, v118, v43
	v_mul_f16_sdwa v43, v123, v90 dst_sel:DWORD dst_unused:UNUSED_PAD src0_sel:WORD_1 src1_sel:DWORD
	v_add_f16_e32 v101, v128, v101
	v_fmamk_f16 v124, v38, 0x3722, v122
	v_fmamk_f16 v90, v123, 0xbb29, v44
	v_fma_f16 v118, v38, 0x3722, -v122
	v_fmac_f16_e32 v44, 0x3b29, v123
	v_fmamk_f16 v122, v38, 0x2de8, v43
	v_mul_f16_sdwa v89, v38, v89 dst_sel:DWORD dst_unused:UNUSED_PAD src0_sel:WORD_1 src1_sel:DWORD
	v_fma_f16 v43, v38, 0x2de8, -v43
	v_add_f16_e32 v100, v118, v100
	v_add_f16_e32 v44, v44, v101
	;; [unrolled: 1-line block ×3, first 2 shown]
	v_fmamk_f16 v105, v123, 0x3bf7, v89
	v_fmac_f16_e32 v89, 0xbbf7, v123
	v_mul_f16_sdwa v118, v38, v85 dst_sel:DWORD dst_unused:UNUSED_PAD src0_sel:WORD_1 src1_sel:DWORD
	v_add_f16_e32 v90, v90, v104
	v_mul_f16_sdwa v104, v123, v134 dst_sel:DWORD dst_unused:UNUSED_PAD src0_sel:WORD_1 src1_sel:DWORD
	v_add_f16_e32 v43, v43, v102
	v_add_f16_e32 v102, v89, v103
	v_fmamk_f16 v89, v123, 0xba62, v118
	v_add_f16_e32 v105, v105, v106
	v_fmamk_f16 v122, v38, 0xb8d2, v104
	v_fma_f16 v104, v38, 0xb8d2, -v104
	v_mul_f16_sdwa v86, v123, v86 dst_sel:DWORD dst_unused:UNUSED_PAD src0_sel:WORD_1 src1_sel:DWORD
	v_add_f16_e32 v106, v89, v109
	v_mul_f16_sdwa v89, v38, v83 dst_sel:DWORD dst_unused:UNUSED_PAD src0_sel:WORD_1 src1_sel:DWORD
	v_add_f16_e32 v103, v122, v108
	v_add_f16_e32 v96, v104, v96
	v_fmamk_f16 v104, v38, 0x3b76, v86
	v_mul_f16_sdwa v108, v123, v94 dst_sel:DWORD dst_unused:UNUSED_PAD src0_sel:WORD_1 src1_sel:DWORD
	v_fmamk_f16 v109, v123, 0x35c8, v89
	v_fma_f16 v86, v38, 0x3b76, -v86
	v_fmac_f16_e32 v127, 0xb964, v126
	v_add_f16_e32 v104, v104, v110
	v_fmac_f16_e32 v89, 0xb5c8, v123
	v_fmamk_f16 v110, v38, 0xbbdd, v108
	v_add_f16_e32 v109, v109, v111
	v_add_f16_e32 v111, v86, v112
	v_mul_f16_sdwa v86, v38, v93 dst_sel:DWORD dst_unused:UNUSED_PAD src0_sel:WORD_1 src1_sel:DWORD
	v_add_f16_e32 v116, v127, v116
	v_fmac_f16_e32 v118, 0x3a62, v123
	v_add_f16_e32 v112, v89, v113
	v_add_f16_e32 v110, v110, v114
	v_mul_f16_sdwa v89, v123, v95 dst_sel:DWORD dst_unused:UNUSED_PAD src0_sel:WORD_1 src1_sel:DWORD
	v_fmamk_f16 v114, v123, 0x31e1, v86
	v_fma_f16 v108, v38, 0xbbdd, -v108
	v_fmac_f16_e32 v86, 0xb1e1, v123
	v_add_f16_e32 v107, v118, v107
	v_mul_f16_sdwa v113, v38, v48 dst_sel:DWORD dst_unused:UNUSED_PAD src0_sel:WORD_1 src1_sel:DWORD
	v_fmamk_f16 v118, v38, 0x39e9, v89
	v_add_f16_e32 v114, v114, v117
	v_add_f16_e32 v92, v108, v92
	v_add_f16_e32 v108, v86, v116
	v_pk_add_f16 v117, v29, v30 neg_lo:[0,1] neg_hi:[0,1]
	v_fma_f16 v86, v38, 0x39e9, -v89
	v_pk_mul_f16 v89, 0xbbb2, v123 op_sel_hi:[0,1]
	v_pk_add_f16 v29, v30, v29
	v_fmamk_f16 v122, v123, 0xb964, v113
	v_fmac_f16_e32 v113, 0x3964, v123
	v_mul_f16_sdwa v30, v117, v94 dst_sel:DWORD dst_unused:UNUSED_PAD src0_sel:WORD_1 src1_sel:DWORD
	v_add_f16_e32 v94, v86, v119
	v_pk_fma_f16 v86, 0xb461, v38, v89 op_sel:[0,0,1] op_sel_hi:[0,1,0]
	v_mul_f16_sdwa v93, v29, v93 dst_sel:DWORD dst_unused:UNUSED_PAD src0_sel:WORD_1 src1_sel:DWORD
	v_pk_fma_f16 v38, 0xb461, v38, v89 op_sel:[0,0,1] op_sel_hi:[0,1,0] neg_lo:[0,0,1] neg_hi:[0,0,1]
	v_add_f16_e32 v99, v125, v99
	v_add_f16_e32 v98, v113, v98
	v_fmamk_f16 v89, v29, 0xbbdd, v30
	v_pk_add_f16 v113, v86, v120
	v_fmamk_f16 v86, v117, 0x31e1, v93
	v_fma_f16 v30, v29, 0xbbdd, -v30
	v_fmac_f16_e32 v93, 0xb1e1, v117
	v_mul_f16_sdwa v83, v29, v83 dst_sel:DWORD dst_unused:UNUSED_PAD src0_sel:WORD_1 src1_sel:DWORD
	v_pk_add_f16 v37, v38, v37
	v_mul_f16_sdwa v38, v117, v41 dst_sel:DWORD dst_unused:UNUSED_PAD src0_sel:WORD_1 src1_sel:DWORD
	v_add_f16_e32 v41, v89, v99
	v_add_f16_e32 v42, v86, v42
	;; [unrolled: 1-line block ×4, first 2 shown]
	v_fmamk_f16 v39, v117, 0xb5c8, v83
	v_mul_f16_sdwa v40, v117, v88 dst_sel:DWORD dst_unused:UNUSED_PAD src0_sel:WORD_1 src1_sel:DWORD
	v_fmac_f16_e32 v83, 0x35c8, v117
	v_add_f16_e32 v97, v124, v97
	v_fmamk_f16 v99, v29, 0x3b76, v38
	v_mul_f16_sdwa v91, v117, v91 dst_sel:DWORD dst_unused:UNUSED_PAD src0_sel:WORD_1 src1_sel:DWORD
	v_add_f16_e32 v39, v39, v90
	v_fmamk_f16 v93, v29, 0xbacd, v40
	v_add_f16_e32 v90, v83, v44
	v_mul_f16_sdwa v44, v117, v95 dst_sel:DWORD dst_unused:UNUSED_PAD src0_sel:WORD_1 src1_sel:DWORD
	v_fma_f16 v40, v29, 0xbacd, -v40
	v_add_f16_e32 v30, v99, v97
	v_fma_f16 v38, v29, 0x3b76, -v38
	v_mul_f16_sdwa v87, v29, v87 dst_sel:DWORD dst_unused:UNUSED_PAD src0_sel:WORD_1 src1_sel:DWORD
	v_fmamk_f16 v97, v29, 0x3722, v91
	v_fma_f16 v91, v29, 0x3722, -v91
	v_mul_f16_sdwa v48, v29, v48 dst_sel:DWORD dst_unused:UNUSED_PAD src0_sel:WORD_1 src1_sel:DWORD
	v_fmamk_f16 v95, v29, 0x39e9, v44
	v_add_f16_e32 v83, v40, v43
	v_mul_f16_sdwa v40, v117, v84 dst_sel:DWORD dst_unused:UNUSED_PAD src0_sel:WORD_1 src1_sel:DWORD
	v_fma_f16 v44, v29, 0x39e9, -v44
	v_mul_f16_sdwa v85, v29, v85 dst_sel:DWORD dst_unused:UNUSED_PAD src0_sel:WORD_1 src1_sel:DWORD
	v_mul_f16_sdwa v47, v29, v47 dst_sel:DWORD dst_unused:UNUSED_PAD src0_sel:WORD_1 src1_sel:DWORD
	;; [unrolled: 1-line block ×4, first 2 shown]
	v_add_f16_e32 v88, v38, v100
	v_fmamk_f16 v38, v117, 0x3836, v87
	v_fmac_f16_e32 v87, 0xb836, v117
	v_add_f16_e32 v91, v91, v92
	v_pk_mul_f16 v92, 0x3bf7, v117 op_sel_hi:[0,1]
	v_fmamk_f16 v84, v117, 0xb964, v48
	v_add_f16_e32 v43, v95, v103
	v_fmamk_f16 v95, v29, 0xb8d2, v40
	v_add_f16_e32 v44, v44, v96
	v_fmamk_f16 v96, v117, 0x3a62, v85
	v_fmamk_f16 v99, v117, 0xbb29, v47
	v_add_f16_e32 v116, v118, v121
	v_add_f16_e32 v115, v122, v115
	v_add_f16_e32 v93, v93, v101
	v_fmamk_f16 v100, v29, 0xb461, v82
	v_fmamk_f16 v101, v117, 0x3bb2, v81
	v_add_f16_e32 v87, v87, v102
	v_fma_f16 v40, v29, 0xb8d2, -v40
	v_fma_f16 v82, v29, 0xb461, -v82
	v_pk_fma_f16 v102, 0x2de8, v29, v92 op_sel:[0,0,1] op_sel_hi:[0,1,0]
	v_pk_fma_f16 v29, 0x2de8, v29, v92 op_sel:[0,0,1] op_sel_hi:[0,1,0] neg_lo:[0,0,1] neg_hi:[0,0,1]
	v_add_f16_e32 v38, v38, v105
	v_add_f16_e32 v84, v84, v106
	v_fmac_f16_e32 v47, 0x3b29, v117
	v_fmac_f16_e32 v81, 0xbbb2, v117
	v_fmac_f16_e32 v48, 0x3964, v117
	v_add_f16_e32 v95, v95, v104
	v_fmac_f16_e32 v85, 0xba62, v117
	v_add_f16_e32 v96, v96, v109
	v_add_f16_e32 v97, v97, v110
	;; [unrolled: 1-line block ×6, first 2 shown]
	v_pk_add_f16 v94, v102, v113
	v_pk_add_f16 v29, v29, v37
	v_pack_b32_f16 v30, v30, v39
	v_pack_b32_f16 v37, v41, v42
	v_add_f16_e32 v47, v47, v108
	v_add_f16_e32 v81, v81, v98
	v_pack_b32_f16 v39, v43, v84
	v_pack_b32_f16 v38, v93, v38
	v_add_f16_e32 v48, v48, v107
	v_add_f16_e32 v40, v40, v111
	v_add_f16_e32 v85, v85, v112
	v_pack_b32_f16 v41, v97, v99
	v_pack_b32_f16 v42, v95, v96
	;; [unrolled: 1-line block ×3, first 2 shown]
	ds_write2_b32 v45, v37, v30 offset0:1 offset1:2
	ds_write2_b32 v45, v38, v39 offset0:3 offset1:4
	;; [unrolled: 1-line block ×3, first 2 shown]
	ds_write2_b32 v45, v46, v43 offset1:7
	v_bfi_b32 v30, 0xffff, v29, v94
	v_bfi_b32 v29, 0xffff, v94, v29
	v_pack_b32_f16 v37, v91, v47
	v_pack_b32_f16 v38, v82, v81
	;; [unrolled: 1-line block ×7, first 2 shown]
	ds_write2_b32 v45, v29, v30 offset0:8 offset1:9
	ds_write2_b32 v45, v38, v37 offset0:10 offset1:11
	;; [unrolled: 1-line block ×4, first 2 shown]
	ds_write_b32 v45, v43 offset:64
	v_add_nc_u32_e32 v37, 0x400, v49
	v_add_nc_u32_e32 v38, 0x800, v49
	v_add_nc_u32_e32 v39, 0xc00, v49
	v_add_nc_u32_e32 v40, 0x1000, v49
	s_waitcnt lgkmcnt(0)
	s_barrier
	buffer_gl0_inv
	ds_read2_b32 v[47:48], v37 offset0:33 offset1:152
	v_add_nc_u32_e32 v37, 0x1a00, v49
	ds_read2_b32 v[29:30], v49 offset1:119
	ds_read2_b32 v[45:46], v38 offset0:66 offset1:185
	ds_read2_b32 v[43:44], v39 offset0:99 offset1:218
	;; [unrolled: 1-line block ×5, first 2 shown]
	s_and_saveexec_b32 s0, vcc_lo
	s_cbranch_execz .LBB0_7
; %bb.6:
	ds_read_b32 v83, v49 offset:952
	ds_read_b32 v88, v49 offset:2108
	;; [unrolled: 1-line block ×7, first 2 shown]
	s_waitcnt lgkmcnt(6)
	v_lshrrev_b32_e32 v87, 16, v83
	s_waitcnt lgkmcnt(5)
	v_lshrrev_b32_e32 v90, 16, v88
	;; [unrolled: 2-line block ×7, first 2 shown]
.LBB0_7:
	s_or_b32 exec_lo, exec_lo, s0
	s_waitcnt lgkmcnt(6)
	v_lshrrev_b32_e32 v80, 16, v47
	s_waitcnt lgkmcnt(4)
	v_lshrrev_b32_e32 v81, 16, v45
	;; [unrolled: 2-line block ×5, first 2 shown]
	v_mul_f16_sdwa v97, v8, v80 dst_sel:DWORD dst_unused:UNUSED_PAD src0_sel:WORD_1 src1_sel:DWORD
	v_mul_f16_sdwa v98, v8, v47 dst_sel:DWORD dst_unused:UNUSED_PAD src0_sel:WORD_1 src1_sel:DWORD
	;; [unrolled: 1-line block ×4, first 2 shown]
	s_waitcnt lgkmcnt(0)
	v_lshrrev_b32_e32 v91, 16, v37
	v_lshrrev_b32_e32 v92, 16, v48
	v_fmac_f16_e32 v97, v8, v47
	v_fma_f16 v8, v8, v80, -v98
	v_fmac_f16_e32 v99, v9, v45
	v_fma_f16 v9, v9, v81, -v100
	v_mul_f16_sdwa v45, v10, v82 dst_sel:DWORD dst_unused:UNUSED_PAD src0_sel:WORD_1 src1_sel:DWORD
	v_mul_f16_sdwa v47, v10, v43 dst_sel:DWORD dst_unused:UNUSED_PAD src0_sel:WORD_1 src1_sel:DWORD
	;; [unrolled: 1-line block ×5, first 2 shown]
	v_lshrrev_b32_e32 v93, 16, v46
	v_lshrrev_b32_e32 v95, 16, v42
	v_fmac_f16_e32 v45, v10, v43
	v_fma_f16 v10, v10, v82, -v47
	v_fmac_f16_e32 v80, v11, v41
	v_fma_f16 v11, v11, v84, -v81
	v_fmac_f16_e32 v98, v35, v39
	v_mul_f16_sdwa v39, v35, v39 dst_sel:DWORD dst_unused:UNUSED_PAD src0_sel:WORD_1 src1_sel:DWORD
	v_mul_f16_sdwa v41, v36, v91 dst_sel:DWORD dst_unused:UNUSED_PAD src0_sel:WORD_1 src1_sel:DWORD
	;; [unrolled: 1-line block ×4, first 2 shown]
	v_lshrrev_b32_e32 v94, 16, v44
	v_lshrrev_b32_e32 v96, 16, v40
	;; [unrolled: 1-line block ×3, first 2 shown]
	v_mul_f16_sdwa v43, v36, v37 dst_sel:DWORD dst_unused:UNUSED_PAD src0_sel:WORD_1 src1_sel:DWORD
	v_fma_f16 v35, v35, v85, -v39
	v_fmac_f16_e32 v41, v36, v37
	v_fmac_f16_e32 v47, v4, v48
	v_fma_f16 v4, v4, v92, -v81
	v_mul_f16_sdwa v37, v5, v93 dst_sel:DWORD dst_unused:UNUSED_PAD src0_sel:WORD_1 src1_sel:DWORD
	v_mul_f16_sdwa v39, v5, v46 dst_sel:DWORD dst_unused:UNUSED_PAD src0_sel:WORD_1 src1_sel:DWORD
	v_mul_f16_sdwa v81, v7, v95 dst_sel:DWORD dst_unused:UNUSED_PAD src0_sel:WORD_1 src1_sel:DWORD
	v_fma_f16 v36, v36, v91, -v43
	v_mul_f16_sdwa v43, v6, v94 dst_sel:DWORD dst_unused:UNUSED_PAD src0_sel:WORD_1 src1_sel:DWORD
	v_mul_f16_sdwa v48, v6, v44 dst_sel:DWORD dst_unused:UNUSED_PAD src0_sel:WORD_1 src1_sel:DWORD
	v_fmac_f16_e32 v37, v5, v46
	v_fma_f16 v5, v5, v93, -v39
	v_fmac_f16_e32 v81, v7, v42
	v_mul_f16_sdwa v39, v7, v42 dst_sel:DWORD dst_unused:UNUSED_PAD src0_sel:WORD_1 src1_sel:DWORD
	v_mul_f16_sdwa v42, v33, v96 dst_sel:DWORD dst_unused:UNUSED_PAD src0_sel:WORD_1 src1_sel:DWORD
	;; [unrolled: 1-line block ×3, first 2 shown]
	v_fmac_f16_e32 v43, v6, v44
	v_fma_f16 v6, v6, v94, -v48
	v_mul_f16_sdwa v44, v33, v40 dst_sel:DWORD dst_unused:UNUSED_PAD src0_sel:WORD_1 src1_sel:DWORD
	v_mul_f16_sdwa v48, v34, v38 dst_sel:DWORD dst_unused:UNUSED_PAD src0_sel:WORD_1 src1_sel:DWORD
	v_fma_f16 v7, v7, v95, -v39
	v_fmac_f16_e32 v42, v33, v40
	v_fmac_f16_e32 v46, v34, v38
	v_add_f16_e32 v38, v97, v41
	v_add_f16_e32 v39, v8, v36
	v_sub_f16_e32 v40, v97, v41
	v_add_f16_e32 v41, v9, v35
	v_fma_f16 v34, v34, v101, -v48
	v_sub_f16_e32 v8, v8, v36
	v_add_f16_e32 v36, v99, v98
	v_sub_f16_e32 v9, v9, v35
	v_add_f16_e32 v35, v45, v80
	v_add_f16_e32 v48, v10, v11
	v_sub_f16_e32 v45, v80, v45
	v_add_f16_e32 v80, v41, v39
	v_sub_f16_e32 v10, v11, v10
	;; [unrolled: 2-line block ×3, first 2 shown]
	v_sub_f16_e32 v39, v39, v48
	v_sub_f16_e32 v41, v48, v41
	v_add_f16_e32 v48, v48, v80
	v_fma_f16 v33, v33, v96, -v44
	v_sub_f16_e32 v44, v99, v98
	v_sub_f16_e32 v82, v36, v38
	;; [unrolled: 1-line block ×4, first 2 shown]
	v_add_f16_e32 v11, v35, v11
	v_add_f16_sdwa v35, v48, v29 dst_sel:DWORD dst_unused:UNUSED_PAD src0_sel:DWORD src1_sel:WORD_1
	v_add_f16_e32 v80, v45, v44
	v_add_f16_e32 v85, v10, v9
	v_sub_f16_e32 v91, v45, v44
	v_sub_f16_e32 v92, v10, v9
	v_add_f16_e32 v29, v11, v29
	v_lshlrev_b32_e32 v93, 16, v35
	v_sub_f16_e32 v44, v44, v40
	v_sub_f16_e32 v9, v9, v8
	;; [unrolled: 1-line block ×4, first 2 shown]
	v_add_f16_e32 v40, v80, v40
	v_add_f16_e32 v8, v85, v8
	v_or_b32_sdwa v80, v93, v29 dst_sel:DWORD dst_unused:UNUSED_PAD src0_sel:DWORD src1_sel:WORD_0
	v_mul_f16_e32 v38, 0x3a52, v38
	v_mul_f16_e32 v39, 0x3a52, v39
	;; [unrolled: 1-line block ×8, first 2 shown]
	v_fmac_f16_e32 v29, 0xbcab, v11
	v_fmac_f16_e32 v35, 0xbcab, v48
	v_fmamk_f16 v11, v36, 0x2b26, v38
	v_fmamk_f16 v36, v41, 0x2b26, v39
	v_fma_f16 v41, v82, 0x39e0, -v85
	v_fma_f16 v48, v84, 0x39e0, -v93
	;; [unrolled: 1-line block ×4, first 2 shown]
	v_fmamk_f16 v82, v45, 0xb574, v91
	v_fmamk_f16 v84, v10, 0xb574, v92
	v_fma_f16 v44, v44, 0xbb00, -v91
	v_fma_f16 v9, v9, 0xbb00, -v92
	;; [unrolled: 1-line block ×4, first 2 shown]
	v_add_f16_e32 v11, v11, v29
	v_add_f16_e32 v36, v36, v35
	;; [unrolled: 1-line block ×6, first 2 shown]
	v_fmac_f16_e32 v82, 0xb70e, v40
	v_fmac_f16_e32 v44, 0xb70e, v40
	;; [unrolled: 1-line block ×5, first 2 shown]
	v_sub_f16_e32 v38, v36, v82
	v_add_f16_e32 v91, v44, v48
	v_add_f16_e32 v39, v10, v29
	v_sub_f16_e32 v40, v35, v45
	v_sub_f16_e32 v85, v41, v9
	v_add_f16_e32 v9, v9, v41
	v_sub_f16_e32 v41, v48, v44
	v_sub_f16_e32 v10, v29, v10
	v_add_f16_e32 v29, v45, v35
	v_add_f16_e32 v35, v82, v36
	v_add_f16_e32 v36, v47, v46
	v_add_f16_e32 v44, v4, v34
	v_sub_f16_e32 v45, v47, v46
	v_sub_f16_e32 v4, v4, v34
	v_add_f16_e32 v34, v37, v42
	v_add_f16_e32 v46, v5, v33
	v_fmac_f16_e32 v84, 0xb70e, v8
	v_sub_f16_e32 v37, v37, v42
	v_sub_f16_e32 v5, v5, v33
	v_add_f16_e32 v33, v43, v81
	v_add_f16_e32 v42, v6, v7
	v_sub_f16_e32 v43, v81, v43
	v_sub_f16_e32 v6, v7, v6
	v_add_f16_e32 v7, v34, v36
	v_add_f16_e32 v47, v46, v44
	;; [unrolled: 1-line block ×3, first 2 shown]
	v_sub_f16_e32 v11, v11, v84
	v_sub_f16_e32 v48, v34, v36
	;; [unrolled: 1-line block ×7, first 2 shown]
	v_add_f16_e32 v82, v43, v37
	v_add_f16_e32 v84, v6, v5
	v_sub_f16_e32 v92, v43, v37
	v_sub_f16_e32 v93, v6, v5
	v_add_f16_e32 v7, v33, v7
	v_add_f16_e32 v33, v42, v47
	v_sub_f16_e32 v37, v37, v45
	v_sub_f16_e32 v5, v5, v4
	;; [unrolled: 1-line block ×4, first 2 shown]
	v_add_f16_e32 v42, v82, v45
	v_add_f16_e32 v4, v84, v4
	;; [unrolled: 1-line block ×3, first 2 shown]
	v_add_f16_sdwa v30, v30, v33 dst_sel:DWORD dst_unused:UNUSED_PAD src0_sel:WORD_1 src1_sel:DWORD
	v_mul_f16_e32 v36, 0x3a52, v36
	v_mul_f16_e32 v44, 0x3a52, v44
	;; [unrolled: 1-line block ×8, first 2 shown]
	v_fmamk_f16 v7, v7, 0xbcab, v45
	v_fmamk_f16 v33, v33, 0xbcab, v30
	;; [unrolled: 1-line block ×4, first 2 shown]
	v_fma_f16 v47, v48, 0x39e0, -v47
	v_fma_f16 v82, v81, 0x39e0, -v82
	;; [unrolled: 1-line block ×4, first 2 shown]
	v_fmamk_f16 v48, v43, 0xb574, v84
	v_fmamk_f16 v81, v6, 0xb574, v92
	v_fma_f16 v37, v37, 0xbb00, -v84
	v_fma_f16 v5, v5, 0xbb00, -v92
	v_fma_f16 v43, v43, 0x3574, -v93
	v_fma_f16 v6, v6, 0x3574, -v94
	v_add_f16_e32 v34, v34, v7
	v_add_f16_e32 v46, v46, v33
	v_fmac_f16_e32 v48, 0xb70e, v42
	v_fmac_f16_e32 v81, 0xb70e, v4
	v_add_f16_e32 v47, v47, v7
	v_add_f16_e32 v82, v82, v33
	;; [unrolled: 1-line block ×4, first 2 shown]
	v_fmac_f16_e32 v37, 0xb70e, v42
	v_fmac_f16_e32 v6, 0xb70e, v4
	;; [unrolled: 1-line block ×4, first 2 shown]
	v_pack_b32_f16 v8, v8, v38
	v_add_f16_e32 v4, v81, v34
	v_sub_f16_e32 v36, v46, v48
	v_pack_b32_f16 v38, v39, v40
	v_pack_b32_f16 v39, v85, v91
	v_add_f16_e32 v42, v6, v7
	v_sub_f16_e32 v44, v33, v43
	v_sub_f16_e32 v84, v47, v5
	v_add_f16_e32 v92, v37, v82
	v_pack_b32_f16 v9, v9, v41
	v_pack_b32_f16 v10, v10, v29
	v_add_f16_e32 v5, v5, v47
	v_sub_f16_e32 v37, v82, v37
	v_sub_f16_e32 v6, v7, v6
	v_add_f16_e32 v7, v43, v33
	v_sub_f16_e32 v33, v34, v81
	v_add_f16_e32 v34, v48, v46
	s_barrier
	buffer_gl0_inv
	ds_write2_b32 v71, v80, v8 offset1:17
	ds_write2_b32 v71, v38, v39 offset0:34 offset1:51
	ds_write2_b32 v71, v9, v10 offset0:68 offset1:85
	v_pack_b32_f16 v8, v11, v35
	v_pack_b32_f16 v9, v45, v30
	;; [unrolled: 1-line block ×8, first 2 shown]
	ds_write_b32 v71, v8 offset:408
	ds_write2_b32 v70, v9, v4 offset1:17
	ds_write2_b32 v70, v10, v11 offset0:34 offset1:51
	ds_write2_b32 v70, v5, v6 offset0:68 offset1:85
	ds_write_b32 v70, v7 offset:408
	s_and_saveexec_b32 s0, vcc_lo
	s_cbranch_execz .LBB0_9
; %bb.8:
	v_mul_f16_sdwa v4, v0, v90 dst_sel:DWORD dst_unused:UNUSED_PAD src0_sel:WORD_1 src1_sel:DWORD
	v_mul_f16_sdwa v7, v1, v89 dst_sel:DWORD dst_unused:UNUSED_PAD src0_sel:WORD_1 src1_sel:DWORD
	v_mul_f16_sdwa v8, v31, v77 dst_sel:DWORD dst_unused:UNUSED_PAD src0_sel:WORD_1 src1_sel:DWORD
	v_mul_f16_sdwa v29, v32, v78 dst_sel:DWORD dst_unused:UNUSED_PAD src0_sel:WORD_1 src1_sel:DWORD
	v_mul_f16_sdwa v34, v0, v88 dst_sel:DWORD dst_unused:UNUSED_PAD src0_sel:WORD_1 src1_sel:DWORD
	v_mul_f16_sdwa v35, v31, v76 dst_sel:DWORD dst_unused:UNUSED_PAD src0_sel:WORD_1 src1_sel:DWORD
	v_mul_f16_sdwa v36, v1, v86 dst_sel:DWORD dst_unused:UNUSED_PAD src0_sel:WORD_1 src1_sel:DWORD
	v_mul_f16_sdwa v5, v3, v75 dst_sel:DWORD dst_unused:UNUSED_PAD src0_sel:WORD_1 src1_sel:DWORD
	v_mul_f16_sdwa v6, v2, v74 dst_sel:DWORD dst_unused:UNUSED_PAD src0_sel:WORD_1 src1_sel:DWORD
	v_mul_f16_sdwa v9, v32, v79 dst_sel:DWORD dst_unused:UNUSED_PAD src0_sel:WORD_1 src1_sel:DWORD
	v_fmac_f16_e32 v7, v1, v86
	v_fmac_f16_e32 v8, v31, v76
	;; [unrolled: 1-line block ×3, first 2 shown]
	v_fma_f16 v29, v32, v79, -v29
	v_fma_f16 v0, v0, v90, -v34
	v_mul_f16_sdwa v34, v2, v72 dst_sel:DWORD dst_unused:UNUSED_PAD src0_sel:WORD_1 src1_sel:DWORD
	v_mul_f16_sdwa v37, v3, v73 dst_sel:DWORD dst_unused:UNUSED_PAD src0_sel:WORD_1 src1_sel:DWORD
	v_fma_f16 v31, v31, v77, -v35
	v_fma_f16 v1, v1, v89, -v36
	v_fmac_f16_e32 v5, v3, v73
	v_fmac_f16_e32 v6, v2, v72
	v_fmac_f16_e32 v9, v32, v78
	v_add_f16_e32 v35, v29, v0
	v_fma_f16 v2, v2, v74, -v34
	v_fma_f16 v3, v3, v75, -v37
	v_add_f16_e32 v34, v31, v1
	v_sub_f16_e32 v11, v7, v8
	v_sub_f16_e32 v30, v4, v9
	v_add_f16_e32 v4, v9, v4
	v_add_f16_e32 v37, v2, v3
	;; [unrolled: 1-line block ×4, first 2 shown]
	v_sub_f16_e32 v10, v5, v6
	v_add_f16_e32 v5, v6, v5
	v_sub_f16_e32 v39, v35, v37
	v_add_f16_e32 v38, v37, v38
	;; [unrolled: 2-line block ×3, first 2 shown]
	v_sub_f16_e32 v40, v4, v5
	v_sub_f16_e32 v2, v3, v2
	;; [unrolled: 1-line block ×4, first 2 shown]
	v_add_f16_e32 v37, v5, v37
	v_sub_f16_e32 v33, v10, v11
	v_sub_f16_e32 v32, v30, v10
	v_add_f16_e32 v10, v10, v11
	v_mul_f16_e32 v3, 0x3a52, v40
	v_sub_f16_e32 v5, v5, v7
	v_add_f16_e32 v31, v83, v37
	v_sub_f16_e32 v29, v2, v1
	v_sub_f16_e32 v11, v11, v30
	v_mul_f16_e32 v9, 0x3a52, v39
	v_sub_f16_e32 v41, v0, v2
	v_add_f16_e32 v2, v2, v1
	v_sub_f16_e32 v34, v34, v35
	v_sub_f16_e32 v1, v1, v0
	v_mul_f16_e32 v33, 0x3846, v33
	v_add_f16_e32 v6, v87, v38
	v_mul_f16_e32 v39, 0x2b26, v8
	v_fmamk_f16 v40, v5, 0x2b26, v3
	v_fmamk_f16 v37, v37, 0xbcab, v31
	v_mul_f16_e32 v29, 0x3846, v29
	v_mul_f16_e32 v43, 0xbb00, v11
	v_fmamk_f16 v8, v8, 0x2b26, v9
	v_mul_f16_e32 v5, 0x2b26, v5
	v_sub_f16_e32 v4, v7, v4
	v_fma_f16 v7, v34, 0xb9e0, -v9
	v_mul_f16_e32 v9, 0xbb00, v1
	v_fmamk_f16 v36, v32, 0xb574, v33
	v_add_f16_e32 v10, v10, v30
	v_fmamk_f16 v38, v38, 0xbcab, v6
	v_add_f16_e32 v30, v40, v37
	;; [unrolled: 2-line block ×3, first 2 shown]
	v_fma_f16 v2, v32, 0x3574, -v43
	v_fma_f16 v32, v34, 0x39e0, -v39
	;; [unrolled: 1-line block ×7, first 2 shown]
	v_fmac_f16_e32 v36, 0xb70e, v10
	v_add_f16_e32 v8, v8, v38
	v_fmac_f16_e32 v40, 0xb70e, v0
	v_fmac_f16_e32 v2, 0xb70e, v10
	v_add_f16_e32 v7, v7, v38
	v_add_f16_e32 v5, v32, v38
	v_fmac_f16_e32 v11, 0xb70e, v10
	v_add_f16_e32 v3, v3, v37
	v_fmac_f16_e32 v9, 0xb70e, v0
	v_fmac_f16_e32 v1, 0xb70e, v0
	v_add_f16_e32 v0, v4, v37
	v_add_f16_e32 v42, v36, v8
	v_sub_f16_e32 v4, v30, v40
	v_add_f16_e32 v10, v2, v7
	v_sub_f16_e32 v32, v5, v11
	v_add_f16_e32 v5, v11, v5
	v_sub_f16_e32 v2, v7, v2
	v_mad_u16 v7, 0x77, v68, v69
	v_mov_b32_e32 v11, 2
	v_sub_f16_e32 v8, v8, v36
	v_add_f16_e32 v30, v40, v30
	v_sub_f16_e32 v29, v3, v9
	v_add_f16_e32 v33, v1, v0
	v_add_f16_e32 v3, v9, v3
	v_sub_f16_e32 v0, v0, v1
	v_lshlrev_b32_sdwa v1, v11, v7 dst_sel:DWORD dst_unused:UNUSED_PAD src0_sel:DWORD src1_sel:WORD_0
	v_pack_b32_f16 v6, v31, v6
	v_pack_b32_f16 v7, v30, v8
	;; [unrolled: 1-line block ×7, first 2 shown]
	ds_write2_b32 v1, v6, v7 offset1:17
	ds_write2_b32 v1, v2, v0 offset0:34 offset1:51
	ds_write2_b32 v1, v3, v5 offset0:68 offset1:85
	ds_write_b32 v1, v4 offset:408
.LBB0_9:
	s_or_b32 exec_lo, exec_lo, s0
	v_add_nc_u32_e32 v6, 0x200, v49
	s_waitcnt lgkmcnt(0)
	s_barrier
	buffer_gl0_inv
	ds_read2_b32 v[31:32], v49 offset1:119
	ds_read2_b32 v[7:8], v6 offset0:110 offset1:229
	v_add_nc_u32_e32 v5, 0x600, v49
	v_add_nc_u32_e32 v4, 0xa00, v49
	;; [unrolled: 1-line block ×5, first 2 shown]
	ds_read2_b32 v[9:10], v5 offset0:92 offset1:211
	ds_read2_b32 v[33:34], v4 offset0:74 offset1:193
	;; [unrolled: 1-line block ×4, first 2 shown]
	v_add_nc_u32_e32 v0, 0x1800, v49
	ds_read2_b32 v[39:40], v1 offset0:20 offset1:139
	ds_read2_b32 v[41:42], v0 offset0:130 offset1:249
	ds_read_b32 v43, v49 offset:7616
	s_mov_b32 s2, 0x2e50bc4c
	s_mov_b32 s3, 0x3f40329e
	s_waitcnt lgkmcnt(8)
	v_lshrrev_b32_e32 v11, 16, v32
	s_waitcnt lgkmcnt(7)
	v_lshrrev_b32_e32 v29, 16, v7
	v_lshrrev_b32_e32 v30, 16, v8
	v_mul_f16_sdwa v80, v26, v8 dst_sel:DWORD dst_unused:UNUSED_PAD src0_sel:WORD_1 src1_sel:DWORD
	v_mul_f16_sdwa v78, v25, v7 dst_sel:DWORD dst_unused:UNUSED_PAD src0_sel:WORD_1 src1_sel:DWORD
	v_mul_f16_sdwa v72, v24, v11 dst_sel:DWORD dst_unused:UNUSED_PAD src0_sel:WORD_1 src1_sel:DWORD
	v_mul_f16_sdwa v77, v25, v29 dst_sel:DWORD dst_unused:UNUSED_PAD src0_sel:WORD_1 src1_sel:DWORD
	s_waitcnt lgkmcnt(6)
	v_lshrrev_b32_e32 v45, 16, v10
	v_mul_f16_sdwa v79, v26, v30 dst_sel:DWORD dst_unused:UNUSED_PAD src0_sel:WORD_1 src1_sel:DWORD
	v_lshrrev_b32_e32 v44, 16, v9
	v_fmac_f16_e32 v72, v24, v32
	v_mul_f16_sdwa v32, v24, v32 dst_sel:DWORD dst_unused:UNUSED_PAD src0_sel:WORD_1 src1_sel:DWORD
	v_fmac_f16_e32 v77, v25, v7
	v_fmac_f16_e32 v79, v26, v8
	v_fma_f16 v80, v26, v30, -v80
	v_mul_f16_sdwa v7, v27, v9 dst_sel:DWORD dst_unused:UNUSED_PAD src0_sel:WORD_1 src1_sel:DWORD
	v_fma_f16 v32, v24, v11, -v32
	v_mul_f16_sdwa v26, v20, v45 dst_sel:DWORD dst_unused:UNUSED_PAD src0_sel:WORD_1 src1_sel:DWORD
	s_waitcnt lgkmcnt(5)
	v_lshrrev_b32_e32 v46, 16, v33
	v_lshrrev_b32_e32 v47, 16, v34
	v_fma_f16 v78, v25, v29, -v78
	v_mul_f16_sdwa v29, v27, v44 dst_sel:DWORD dst_unused:UNUSED_PAD src0_sel:WORD_1 src1_sel:DWORD
	v_mul_f16_sdwa v8, v20, v10 dst_sel:DWORD dst_unused:UNUSED_PAD src0_sel:WORD_1 src1_sel:DWORD
	v_fma_f16 v30, v27, v44, -v7
	v_fmac_f16_e32 v26, v20, v10
	v_add_f16_e32 v7, v72, v31
	v_add_f16_sdwa v10, v32, v31 dst_sel:DWORD dst_unused:UNUSED_PAD src0_sel:DWORD src1_sel:WORD_1
	v_mul_f16_sdwa v24, v21, v46 dst_sel:DWORD dst_unused:UNUSED_PAD src0_sel:WORD_1 src1_sel:DWORD
	v_fmac_f16_e32 v29, v27, v9
	v_fma_f16 v27, v20, v45, -v8
	v_mul_f16_sdwa v8, v21, v33 dst_sel:DWORD dst_unused:UNUSED_PAD src0_sel:WORD_1 src1_sel:DWORD
	v_mul_f16_sdwa v20, v22, v47 dst_sel:DWORD dst_unused:UNUSED_PAD src0_sel:WORD_1 src1_sel:DWORD
	;; [unrolled: 1-line block ×3, first 2 shown]
	v_add_f16_e32 v7, v7, v77
	v_add_f16_e32 v10, v10, v78
	s_waitcnt lgkmcnt(4)
	v_lshrrev_b32_e32 v48, 16, v35
	v_fmac_f16_e32 v24, v21, v33
	v_fma_f16 v25, v21, v46, -v8
	v_fmac_f16_e32 v20, v22, v34
	v_fma_f16 v21, v22, v47, -v9
	v_add_f16_e32 v7, v7, v79
	v_mul_f16_sdwa v11, v23, v35 dst_sel:DWORD dst_unused:UNUSED_PAD src0_sel:WORD_1 src1_sel:DWORD
	v_add_f16_e32 v22, v10, v80
	v_lshrrev_b32_e32 v68, 16, v36
	v_mul_f16_sdwa v8, v23, v48 dst_sel:DWORD dst_unused:UNUSED_PAD src0_sel:WORD_1 src1_sel:DWORD
	v_add_f16_e32 v7, v7, v29
	v_fma_f16 v10, v23, v48, -v11
	v_add_f16_e32 v11, v22, v30
	s_waitcnt lgkmcnt(3)
	v_lshrrev_b32_e32 v69, 16, v37
	v_mul_f16_sdwa v9, v16, v68 dst_sel:DWORD dst_unused:UNUSED_PAD src0_sel:WORD_1 src1_sel:DWORD
	v_fmac_f16_e32 v8, v23, v35
	v_add_f16_e32 v7, v7, v26
	v_mul_f16_sdwa v23, v16, v36 dst_sel:DWORD dst_unused:UNUSED_PAD src0_sel:WORD_1 src1_sel:DWORD
	v_mul_f16_sdwa v33, v17, v37 dst_sel:DWORD dst_unused:UNUSED_PAD src0_sel:WORD_1 src1_sel:DWORD
	v_add_f16_e32 v34, v11, v27
	v_fmac_f16_e32 v9, v16, v36
	v_add_f16_e32 v7, v7, v24
	v_fma_f16 v11, v16, v68, -v23
	v_fma_f16 v16, v17, v69, -v33
	v_add_f16_e32 v33, v34, v25
	v_lshrrev_b32_e32 v70, 16, v38
	v_add_f16_e32 v7, v7, v20
	v_mul_f16_sdwa v22, v17, v69 dst_sel:DWORD dst_unused:UNUSED_PAD src0_sel:WORD_1 src1_sel:DWORD
	s_waitcnt lgkmcnt(2)
	v_lshrrev_b32_e32 v71, 16, v39
	v_add_f16_e32 v33, v33, v21
	v_mul_f16_sdwa v34, v18, v38 dst_sel:DWORD dst_unused:UNUSED_PAD src0_sel:WORD_1 src1_sel:DWORD
	v_add_f16_e32 v7, v7, v8
	v_fmac_f16_e32 v22, v17, v37
	v_mul_f16_sdwa v17, v18, v70 dst_sel:DWORD dst_unused:UNUSED_PAD src0_sel:WORD_1 src1_sel:DWORD
	v_add_f16_e32 v33, v33, v10
	v_lshrrev_b32_e32 v73, 16, v40
	v_add_f16_e32 v7, v7, v9
	v_mul_f16_sdwa v23, v19, v71 dst_sel:DWORD dst_unused:UNUSED_PAD src0_sel:WORD_1 src1_sel:DWORD
	v_fmac_f16_e32 v17, v18, v38
	v_add_f16_e32 v33, v33, v11
	v_fma_f16 v18, v18, v70, -v34
	v_mul_f16_sdwa v34, v19, v39 dst_sel:DWORD dst_unused:UNUSED_PAD src0_sel:WORD_1 src1_sel:DWORD
	v_add_f16_e32 v7, v7, v22
	s_waitcnt lgkmcnt(1)
	v_lshrrev_b32_e32 v74, 16, v41
	v_add_f16_e32 v33, v33, v16
	s_waitcnt lgkmcnt(0)
	v_lshrrev_b32_e32 v76, 16, v43
	v_fmac_f16_e32 v23, v19, v39
	v_mul_f16_sdwa v35, v12, v73 dst_sel:DWORD dst_unused:UNUSED_PAD src0_sel:WORD_1 src1_sel:DWORD
	v_mul_f16_sdwa v36, v12, v40 dst_sel:DWORD dst_unused:UNUSED_PAD src0_sel:WORD_1 src1_sel:DWORD
	v_fma_f16 v19, v19, v71, -v34
	v_add_f16_e32 v7, v7, v17
	v_add_f16_e32 v33, v33, v18
	v_lshrrev_b32_e32 v75, 16, v42
	v_fmac_f16_e32 v35, v12, v40
	v_fma_f16 v12, v12, v73, -v36
	v_mul_f16_sdwa v34, v13, v74 dst_sel:DWORD dst_unused:UNUSED_PAD src0_sel:WORD_1 src1_sel:DWORD
	v_mul_f16_sdwa v36, v13, v41 dst_sel:DWORD dst_unused:UNUSED_PAD src0_sel:WORD_1 src1_sel:DWORD
	v_add_f16_e32 v7, v7, v23
	v_add_f16_e32 v33, v33, v19
	v_mul_f16_sdwa v38, v15, v76 dst_sel:DWORD dst_unused:UNUSED_PAD src0_sel:WORD_1 src1_sel:DWORD
	v_mul_f16_sdwa v39, v15, v43 dst_sel:DWORD dst_unused:UNUSED_PAD src0_sel:WORD_1 src1_sel:DWORD
	;; [unrolled: 1-line block ×3, first 2 shown]
	v_fmac_f16_e32 v34, v13, v41
	v_fma_f16 v13, v13, v74, -v36
	v_add_f16_e32 v7, v7, v35
	v_mul_f16_sdwa v36, v14, v42 dst_sel:DWORD dst_unused:UNUSED_PAD src0_sel:WORD_1 src1_sel:DWORD
	v_add_f16_e32 v33, v33, v12
	v_fmac_f16_e32 v38, v15, v43
	v_fma_f16 v15, v15, v76, -v39
	v_fmac_f16_e32 v37, v14, v42
	v_add_f16_e32 v7, v7, v34
	v_fma_f16 v14, v14, v75, -v36
	v_add_f16_e32 v33, v33, v13
	v_sub_f16_e32 v36, v32, v15
	v_add_f16_e32 v32, v32, v15
	v_add_f16_e32 v7, v7, v37
	;; [unrolled: 1-line block ×4, first 2 shown]
	v_mul_f16_e32 v40, 0xb5c8, v36
	v_sub_f16_e32 v90, v78, v14
	v_add_f16_e32 v7, v7, v38
	v_mul_f16_e32 v42, 0xb964, v36
	v_add_f16_sdwa v15, v33, v15 dst_sel:WORD_1 dst_unused:UNUSED_PAD src0_sel:DWORD src1_sel:DWORD
	v_sub_f16_e32 v33, v72, v38
	v_mul_f16_e32 v38, 0x3b76, v32
	v_fmamk_f16 v41, v39, 0x3b76, v40
	v_mul_f16_e32 v44, 0x39e9, v32
	v_mul_f16_e32 v45, 0xbb29, v36
	;; [unrolled: 1-line block ×13, first 2 shown]
	v_add_f16_e32 v92, v77, v37
	v_mul_f16_e32 v93, 0xb964, v90
	v_add_f16_e32 v14, v78, v14
	v_or_b32_sdwa v7, v15, v7 dst_sel:DWORD dst_unused:UNUSED_PAD src0_sel:DWORD src1_sel:WORD_0
	v_fmamk_f16 v15, v33, 0x35c8, v38
	v_add_f16_e32 v41, v41, v31
	v_fma_f16 v40, v39, 0x3b76, -v40
	v_fmac_f16_e32 v38, 0xb5c8, v33
	v_fmamk_f16 v43, v39, 0x39e9, v42
	v_fmamk_f16 v46, v33, 0x3964, v44
	v_fma_f16 v42, v39, 0x39e9, -v42
	v_fmac_f16_e32 v44, 0xb964, v33
	v_fmamk_f16 v47, v39, 0x3722, v45
	v_fmamk_f16 v68, v33, 0x3b29, v48
	;; [unrolled: 4-line block ×7, first 2 shown]
	v_fma_f16 v36, v39, 0xbbdd, -v36
	v_fmac_f16_e32 v32, 0xb1e1, v33
	v_sub_f16_e32 v33, v77, v37
	v_fmamk_f16 v37, v92, 0x39e9, v93
	v_mul_f16_e32 v39, 0x39e9, v14
	v_add_f16_sdwa v15, v15, v31 dst_sel:DWORD dst_unused:UNUSED_PAD src0_sel:DWORD src1_sel:WORD_1
	v_add_f16_e32 v40, v40, v31
	v_add_f16_sdwa v38, v38, v31 dst_sel:DWORD dst_unused:UNUSED_PAD src0_sel:DWORD src1_sel:WORD_1
	v_add_f16_e32 v43, v43, v31
	;; [unrolled: 2-line block ×16, first 2 shown]
	v_fmamk_f16 v37, v33, 0x3964, v39
	v_mul_f16_e32 v41, 0xbbf7, v90
	v_fma_f16 v78, v92, 0x39e9, -v93
	v_fmac_f16_e32 v39, 0xb964, v33
	v_mul_f16_e32 v91, 0x2de8, v14
	v_add_f16_e32 v15, v37, v15
	v_fmamk_f16 v37, v92, 0x2de8, v41
	v_add_f16_e32 v40, v78, v40
	v_add_f16_e32 v38, v39, v38
	v_fmamk_f16 v39, v33, 0x3bf7, v91
	v_mul_f16_e32 v78, 0xba62, v90
	v_add_f16_e32 v37, v37, v43
	v_fma_f16 v41, v92, 0x2de8, -v41
	v_fmac_f16_e32 v91, 0xbbf7, v33
	v_add_f16_e32 v39, v39, v46
	v_fmamk_f16 v43, v92, 0xb8d2, v78
	v_mul_f16_e32 v46, 0xb8d2, v14
	v_add_f16_e32 v41, v41, v42
	v_add_f16_e32 v42, v91, v44
	v_mul_f16_e32 v44, 0xb1e1, v90
	v_add_f16_e32 v43, v43, v47
	v_fmamk_f16 v47, v33, 0x3a62, v46
	v_fma_f16 v78, v92, 0xb8d2, -v78
	v_mul_f16_e32 v93, 0xbbdd, v14
	v_fmac_f16_e32 v46, 0xba62, v33
	v_fmamk_f16 v91, v92, 0xbbdd, v44
	v_add_f16_e32 v47, v47, v68
	v_add_f16_e32 v45, v78, v45
	v_fmamk_f16 v68, v33, 0x31e1, v93
	v_fma_f16 v44, v92, 0xbbdd, -v44
	v_fmac_f16_e32 v93, 0xb1e1, v33
	v_mul_f16_e32 v78, 0xbacd, v14
	v_add_f16_e32 v46, v46, v48
	v_add_f16_e32 v48, v91, v71
	v_mul_f16_e32 v71, 0x3836, v90
	v_add_f16_e32 v44, v44, v69
	v_add_f16_e32 v69, v93, v70
	v_fmamk_f16 v70, v33, 0xb836, v78
	v_add_f16_e32 v68, v68, v72
	v_fmamk_f16 v72, v92, 0xbacd, v71
	v_mul_f16_e32 v91, 0x3bb2, v90
	v_fma_f16 v71, v92, 0xbacd, -v71
	v_fmac_f16_e32 v78, 0x3836, v33
	v_add_f16_e32 v70, v70, v81
	v_mul_f16_e32 v81, 0xb461, v14
	v_add_f16_e32 v72, v72, v74
	v_fmamk_f16 v74, v92, 0xb461, v91
	v_add_f16_e32 v71, v71, v73
	v_add_f16_e32 v73, v78, v75
	v_mul_f16_e32 v75, 0x3b29, v90
	v_fmamk_f16 v78, v33, 0xbbb2, v81
	v_fmac_f16_e32 v81, 0x3bb2, v33
	v_mul_f16_e32 v93, 0x3722, v14
	v_add_f16_e32 v74, v74, v82
	v_fma_f16 v82, v92, 0xb461, -v91
	v_fmamk_f16 v91, v92, 0x3722, v75
	v_add_f16_e32 v81, v81, v83
	v_fmamk_f16 v83, v33, 0xbb29, v93
	v_mul_f16_e32 v14, 0x3b76, v14
	v_fma_f16 v75, v92, 0x3722, -v75
	v_fmac_f16_e32 v93, 0x3b29, v33
	v_add_f16_e32 v78, v78, v84
	v_mul_f16_e32 v84, 0x35c8, v90
	v_add_f16_e32 v83, v83, v88
	v_fmamk_f16 v88, v33, 0xb5c8, v14
	v_add_f16_e32 v75, v75, v85
	v_add_f16_e32 v85, v93, v86
	v_sub_f16_e32 v86, v80, v13
	v_add_f16_e32 v13, v80, v13
	v_add_f16_e32 v76, v82, v76
	;; [unrolled: 1-line block ×3, first 2 shown]
	v_fmamk_f16 v87, v92, 0x3b76, v84
	v_add_f16_e32 v77, v88, v77
	v_add_f16_e32 v88, v79, v34
	v_mul_f16_e32 v80, 0xbb29, v86
	v_fma_f16 v84, v92, 0x3b76, -v84
	v_fmac_f16_e32 v14, 0x35c8, v33
	v_sub_f16_e32 v33, v79, v34
	v_mul_f16_e32 v34, 0x3722, v13
	v_fmamk_f16 v79, v88, 0x3722, v80
	v_add_f16_e32 v36, v84, v36
	v_add_f16_e32 v14, v14, v31
	v_mul_f16_e32 v31, 0xba62, v86
	v_fmamk_f16 v84, v33, 0x3b29, v34
	v_add_f16_e32 v32, v79, v32
	v_fma_f16 v79, v88, 0x3722, -v80
	v_fmac_f16_e32 v34, 0xbb29, v33
	v_fmamk_f16 v80, v88, 0xb8d2, v31
	v_add_f16_e32 v15, v84, v15
	v_mul_f16_e32 v84, 0xb8d2, v13
	v_add_f16_e32 v40, v79, v40
	v_fma_f16 v31, v88, 0xb8d2, -v31
	v_add_f16_e32 v37, v80, v37
	v_mul_f16_e32 v80, 0xbbdd, v13
	v_fmamk_f16 v79, v33, 0x3a62, v84
	v_fmac_f16_e32 v84, 0xba62, v33
	v_add_f16_e32 v34, v34, v38
	v_mul_f16_e32 v38, 0x31e1, v86
	v_add_f16_e32 v31, v31, v41
	v_add_f16_e32 v87, v87, v89
	;; [unrolled: 1-line block ×3, first 2 shown]
	v_fmamk_f16 v42, v33, 0xb1e1, v80
	v_fmamk_f16 v89, v88, 0xbbdd, v38
	v_add_f16_e32 v39, v79, v39
	v_mul_f16_e32 v79, 0x3bb2, v86
	v_fma_f16 v38, v88, 0xbbdd, -v38
	v_fmac_f16_e32 v80, 0x31e1, v33
	v_add_f16_e32 v42, v42, v47
	v_mul_f16_e32 v47, 0xb461, v13
	v_fmamk_f16 v84, v88, 0xb461, v79
	v_add_f16_e32 v38, v38, v45
	v_add_f16_e32 v45, v80, v46
	v_mul_f16_e32 v46, 0x3964, v86
	v_fmamk_f16 v80, v33, 0xbbb2, v47
	v_add_f16_e32 v48, v84, v48
	v_fma_f16 v79, v88, 0xb461, -v79
	v_fmac_f16_e32 v47, 0x3bb2, v33
	v_fmamk_f16 v84, v88, 0x39e9, v46
	v_add_f16_e32 v68, v80, v68
	v_mul_f16_e32 v80, 0x39e9, v13
	v_add_f16_e32 v44, v79, v44
	v_add_f16_e32 v47, v47, v69
	;; [unrolled: 1-line block ×3, first 2 shown]
	v_mul_f16_e32 v72, 0xb5c8, v86
	v_fmamk_f16 v79, v33, 0xb964, v80
	v_fma_f16 v46, v88, 0x39e9, -v46
	v_fmac_f16_e32 v80, 0x3964, v33
	v_mul_f16_e32 v84, 0x3b76, v13
	v_add_f16_e32 v43, v89, v43
	v_fmamk_f16 v89, v88, 0x3b76, v72
	v_add_f16_e32 v70, v79, v70
	v_add_f16_e32 v46, v46, v71
	;; [unrolled: 1-line block ×3, first 2 shown]
	v_fmamk_f16 v73, v33, 0x35c8, v84
	v_mul_f16_e32 v79, 0xbbf7, v86
	v_fma_f16 v72, v88, 0x3b76, -v72
	v_fmac_f16_e32 v84, 0xb5c8, v33
	v_add_f16_e32 v74, v89, v74
	v_add_f16_e32 v73, v73, v78
	v_fmamk_f16 v80, v88, 0x2de8, v79
	v_add_f16_e32 v72, v72, v76
	v_add_f16_e32 v76, v84, v81
	v_mul_f16_e32 v81, 0xb836, v86
	v_mul_f16_e32 v78, 0x2de8, v13
	v_add_f16_e32 v80, v80, v82
	v_fma_f16 v79, v88, 0x2de8, -v79
	v_mul_f16_e32 v13, 0xbacd, v13
	v_fmamk_f16 v82, v88, 0xbacd, v81
	v_fmamk_f16 v84, v33, 0x3bf7, v78
	v_fmac_f16_e32 v78, 0xbbf7, v33
	v_add_f16_e32 v75, v79, v75
	v_fma_f16 v81, v88, 0xbacd, -v81
	v_add_f16_e32 v79, v82, v87
	v_sub_f16_e32 v82, v30, v12
	v_add_f16_e32 v12, v30, v12
	v_add_f16_e32 v83, v84, v83
	;; [unrolled: 1-line block ×3, first 2 shown]
	v_fmamk_f16 v84, v33, 0x3836, v13
	v_add_f16_e32 v30, v29, v35
	v_mul_f16_e32 v85, 0xbbf7, v82
	v_fmac_f16_e32 v13, 0xb836, v33
	v_sub_f16_e32 v29, v29, v35
	v_mul_f16_e32 v33, 0x2de8, v12
	v_add_f16_e32 v35, v84, v77
	v_fmamk_f16 v77, v30, 0x2de8, v85
	v_add_f16_e32 v36, v81, v36
	v_add_f16_e32 v13, v13, v14
	v_fmamk_f16 v14, v29, 0x3bf7, v33
	v_mul_f16_e32 v81, 0xb1e1, v82
	v_fmac_f16_e32 v33, 0xbbf7, v29
	v_add_f16_e32 v32, v77, v32
	v_fma_f16 v77, v30, 0x2de8, -v85
	v_add_f16_e32 v14, v14, v15
	v_fmamk_f16 v15, v30, 0xbbdd, v81
	v_mul_f16_e32 v84, 0xbbdd, v12
	v_add_f16_e32 v33, v33, v34
	v_mul_f16_e32 v34, 0x3bb2, v82
	v_add_f16_e32 v40, v77, v40
	v_add_f16_e32 v15, v15, v37
	v_fmamk_f16 v37, v29, 0x31e1, v84
	v_fma_f16 v77, v30, 0xbbdd, -v81
	v_fmac_f16_e32 v84, 0xb1e1, v29
	v_fmamk_f16 v81, v30, 0xb461, v34
	v_mul_f16_e32 v85, 0xb461, v12
	v_add_f16_e32 v37, v37, v39
	v_add_f16_e32 v31, v77, v31
	;; [unrolled: 1-line block ×4, first 2 shown]
	v_fmamk_f16 v43, v29, 0xbbb2, v85
	v_mul_f16_e32 v77, 0x35c8, v82
	v_fma_f16 v34, v30, 0xb461, -v34
	v_fmac_f16_e32 v85, 0x3bb2, v29
	v_mul_f16_e32 v81, 0x3b76, v12
	v_add_f16_e32 v42, v43, v42
	v_fmamk_f16 v43, v30, 0x3b76, v77
	v_add_f16_e32 v34, v34, v38
	v_add_f16_e32 v38, v85, v45
	v_fmamk_f16 v45, v29, 0xb5c8, v81
	v_mul_f16_e32 v84, 0xbb29, v82
	v_add_f16_e32 v43, v43, v48
	v_fma_f16 v48, v30, 0x3b76, -v77
	v_fmac_f16_e32 v81, 0x35c8, v29
	v_add_f16_e32 v45, v45, v68
	v_fmamk_f16 v68, v30, 0x3722, v84
	v_mul_f16_e32 v77, 0x3722, v12
	v_add_f16_e32 v44, v48, v44
	v_mul_f16_e32 v48, 0xb836, v82
	v_add_f16_e32 v47, v81, v47
	v_add_f16_e32 v68, v68, v69
	v_fmamk_f16 v69, v29, 0x3b29, v77
	v_fma_f16 v81, v30, 0x3722, -v84
	v_fmac_f16_e32 v77, 0xbb29, v29
	v_fmamk_f16 v84, v30, 0xbacd, v48
	v_mul_f16_e32 v85, 0xbacd, v12
	v_add_f16_e32 v69, v69, v70
	v_add_f16_e32 v46, v81, v46
	;; [unrolled: 1-line block ×4, first 2 shown]
	v_fmamk_f16 v74, v29, 0x3836, v85
	v_mul_f16_e32 v77, 0x3a62, v82
	v_fma_f16 v48, v30, 0xbacd, -v48
	v_mul_f16_e32 v81, 0xb8d2, v12
	v_mul_f16_e32 v82, 0x3964, v82
	v_add_f16_e32 v73, v74, v73
	v_fmamk_f16 v74, v30, 0xb8d2, v77
	v_fma_f16 v77, v30, 0xb8d2, -v77
	v_add_f16_e32 v48, v48, v72
	v_fmamk_f16 v72, v29, 0xba62, v81
	v_fmac_f16_e32 v81, 0x3a62, v29
	v_add_f16_e32 v74, v74, v80
	v_add_f16_e32 v75, v77, v75
	v_sub_f16_e32 v77, v27, v19
	v_add_f16_e32 v72, v72, v83
	v_fmamk_f16 v80, v30, 0x39e9, v82
	v_mul_f16_e32 v12, 0x39e9, v12
	v_add_f16_e32 v78, v81, v78
	v_add_f16_e32 v81, v26, v23
	v_mul_f16_e32 v83, 0xbbb2, v77
	v_add_f16_e32 v19, v27, v19
	v_fmac_f16_e32 v85, 0xb836, v29
	v_add_f16_e32 v79, v80, v79
	v_fmamk_f16 v80, v29, 0xb964, v12
	v_fmac_f16_e32 v12, 0x3964, v29
	v_sub_f16_e32 v23, v26, v23
	v_fmamk_f16 v26, v81, 0xb461, v83
	v_mul_f16_e32 v29, 0xb461, v19
	v_fma_f16 v27, v30, 0x39e9, -v82
	v_add_f16_e32 v12, v12, v13
	v_add_f16_e32 v30, v80, v35
	;; [unrolled: 1-line block ×3, first 2 shown]
	v_fmamk_f16 v26, v23, 0x3bb2, v29
	v_mul_f16_e32 v32, 0x3836, v77
	v_add_f16_e32 v27, v27, v36
	v_fma_f16 v35, v81, 0xb461, -v83
	v_fmac_f16_e32 v29, 0xbbb2, v23
	v_mul_f16_e32 v36, 0xbacd, v19
	v_add_f16_e32 v14, v26, v14
	v_fmamk_f16 v26, v81, 0xbacd, v32
	v_add_f16_e32 v35, v35, v40
	v_add_f16_e32 v29, v29, v33
	v_fmamk_f16 v33, v23, 0xb836, v36
	v_mul_f16_e32 v40, 0x3964, v77
	v_add_f16_e32 v15, v26, v15
	v_fma_f16 v26, v81, 0xbacd, -v32
	v_fmac_f16_e32 v36, 0x3836, v23
	v_add_f16_e32 v32, v33, v37
	v_fmamk_f16 v33, v81, 0x39e9, v40
	v_mul_f16_e32 v37, 0x39e9, v19
	v_add_f16_e32 v26, v26, v31
	v_add_f16_e32 v31, v36, v39
	v_mul_f16_e32 v36, 0xbb29, v77
	v_add_f16_e32 v33, v33, v41
	v_fmamk_f16 v39, v23, 0xb964, v37
	v_fma_f16 v40, v81, 0x39e9, -v40
	v_fmac_f16_e32 v37, 0x3964, v23
	v_fmamk_f16 v41, v81, 0x3722, v36
	v_mul_f16_e32 v80, 0x3722, v19
	v_add_f16_e32 v39, v39, v42
	v_add_f16_e32 v34, v40, v34
	;; [unrolled: 1-line block ×4, first 2 shown]
	v_fmamk_f16 v40, v23, 0x3b29, v80
	v_mul_f16_e32 v41, 0xb1e1, v77
	v_fma_f16 v36, v81, 0x3722, -v36
	v_fmac_f16_e32 v80, 0xbb29, v23
	v_mul_f16_e32 v42, 0xbbdd, v19
	v_add_f16_e32 v40, v40, v45
	v_fmamk_f16 v43, v81, 0xbbdd, v41
	v_add_f16_e32 v36, v36, v44
	v_add_f16_e32 v44, v80, v47
	v_fmamk_f16 v45, v23, 0x31e1, v42
	v_mul_f16_e32 v47, 0x3bf7, v77
	v_fma_f16 v41, v81, 0xbbdd, -v41
	v_add_f16_e32 v43, v43, v68
	v_fmac_f16_e32 v42, 0xb1e1, v23
	v_add_f16_e32 v45, v45, v69
	v_fmamk_f16 v68, v81, 0x2de8, v47
	v_mul_f16_e32 v69, 0x2de8, v19
	v_add_f16_e32 v41, v41, v46
	v_mul_f16_e32 v46, 0xb5c8, v77
	v_add_f16_e32 v76, v85, v76
	v_add_f16_e32 v42, v42, v70
	;; [unrolled: 1-line block ×3, first 2 shown]
	v_fmamk_f16 v70, v23, 0xbbf7, v69
	v_fma_f16 v47, v81, 0x2de8, -v47
	v_fmac_f16_e32 v69, 0x3bf7, v23
	v_fmamk_f16 v71, v81, 0x3b76, v46
	v_mul_f16_e32 v80, 0x3b76, v19
	v_mul_f16_e32 v19, 0xb8d2, v19
	v_add_f16_e32 v70, v70, v73
	v_add_f16_e32 v47, v47, v48
	;; [unrolled: 1-line block ×4, first 2 shown]
	v_fmamk_f16 v71, v23, 0x35c8, v80
	v_mul_f16_e32 v73, 0xba62, v77
	v_fmamk_f16 v74, v23, 0x3a62, v19
	v_sub_f16_e32 v76, v25, v18
	v_add_f16_e32 v18, v25, v18
	v_fmac_f16_e32 v80, 0xb5c8, v23
	v_add_f16_e32 v71, v71, v72
	v_fmamk_f16 v72, v81, 0xb8d2, v73
	v_add_f16_e32 v30, v74, v30
	v_add_f16_e32 v74, v24, v17
	v_mul_f16_e32 v25, 0xba62, v76
	v_fma_f16 v73, v81, 0xb8d2, -v73
	v_fmac_f16_e32 v19, 0xba62, v23
	v_sub_f16_e32 v17, v24, v17
	v_mul_f16_e32 v23, 0xb8d2, v18
	v_fmamk_f16 v24, v74, 0xb8d2, v25
	v_add_f16_e32 v27, v73, v27
	v_add_f16_e32 v12, v19, v12
	v_mul_f16_e32 v19, 0x3bb2, v76
	v_fmamk_f16 v73, v17, 0x3a62, v23
	v_add_f16_e32 v13, v24, v13
	v_fma_f16 v24, v74, 0xb8d2, -v25
	v_fmac_f16_e32 v23, 0xba62, v17
	v_fmamk_f16 v25, v74, 0xb461, v19
	v_add_f16_e32 v14, v73, v14
	v_mul_f16_e32 v73, 0xb461, v18
	v_add_f16_e32 v24, v24, v35
	v_add_f16_e32 v23, v23, v29
	;; [unrolled: 1-line block ×3, first 2 shown]
	v_mul_f16_e32 v25, 0xb5c8, v76
	v_fmamk_f16 v29, v17, 0xbbb2, v73
	v_fma_f16 v19, v74, 0xb461, -v19
	v_fmac_f16_e32 v73, 0x3bb2, v17
	v_mul_f16_e32 v35, 0x3b76, v18
	v_fmamk_f16 v77, v74, 0x3b76, v25
	v_add_f16_e32 v29, v29, v32
	v_add_f16_e32 v19, v19, v26
	;; [unrolled: 1-line block ×3, first 2 shown]
	v_fmamk_f16 v31, v17, 0x35c8, v35
	v_add_f16_e32 v32, v77, v33
	v_mul_f16_e32 v33, 0xb836, v76
	v_fma_f16 v25, v74, 0x3b76, -v25
	v_fmac_f16_e32 v35, 0xb5c8, v17
	v_add_f16_e32 v31, v31, v39
	v_mul_f16_e32 v39, 0xbacd, v18
	v_fmamk_f16 v73, v74, 0xbacd, v33
	v_add_f16_e32 v25, v25, v34
	v_add_f16_e32 v34, v35, v37
	v_mul_f16_e32 v35, 0x3bf7, v76
	v_fmamk_f16 v37, v17, 0x3836, v39
	v_add_f16_e32 v38, v73, v38
	v_fma_f16 v33, v74, 0xbacd, -v33
	v_fmac_f16_e32 v39, 0xb836, v17
	v_fmamk_f16 v73, v74, 0x2de8, v35
	v_add_f16_e32 v37, v37, v40
	v_mul_f16_e32 v40, 0x2de8, v18
	v_add_f16_e32 v33, v33, v36
	v_add_f16_e32 v36, v39, v44
	;; [unrolled: 1-line block ×3, first 2 shown]
	v_mul_f16_e32 v43, 0xb964, v76
	v_fmamk_f16 v44, v17, 0xbbf7, v40
	v_fma_f16 v35, v74, 0x2de8, -v35
	v_mul_f16_e32 v73, 0x39e9, v18
	v_fmac_f16_e32 v40, 0x3bf7, v17
	v_fmamk_f16 v77, v74, 0x39e9, v43
	v_add_f16_e32 v44, v44, v45
	v_add_f16_e32 v35, v35, v41
	v_fmamk_f16 v41, v17, 0x3964, v73
	v_mul_f16_e32 v45, 0xb1e1, v76
	v_fma_f16 v43, v74, 0x39e9, -v43
	v_fmac_f16_e32 v73, 0xb964, v17
	v_fma_f16 v46, v81, 0x3b76, -v46
	v_add_f16_e32 v40, v40, v42
	v_add_f16_e32 v42, v77, v68
	v_add_f16_e32 v41, v41, v70
	v_mul_f16_e32 v68, 0xbbdd, v18
	v_fmamk_f16 v70, v74, 0xbbdd, v45
	v_add_f16_e32 v43, v43, v47
	v_add_f16_e32 v47, v73, v48
	v_mul_f16_e32 v48, 0x3b29, v76
	v_add_f16_e32 v46, v46, v75
	v_add_f16_e32 v75, v80, v78
	;; [unrolled: 1-line block ×3, first 2 shown]
	v_fmamk_f16 v73, v17, 0x31e1, v68
	v_add_f16_e32 v69, v70, v69
	v_fma_f16 v45, v74, 0xbbdd, -v45
	v_fmac_f16_e32 v68, 0xb1e1, v17
	v_fmamk_f16 v70, v74, 0x3722, v48
	v_mul_f16_e32 v18, 0x3722, v18
	v_add_f16_e32 v71, v73, v71
	v_add_f16_e32 v45, v45, v46
	;; [unrolled: 1-line block ×4, first 2 shown]
	v_sub_f16_e32 v70, v21, v16
	v_add_f16_e32 v16, v21, v16
	v_fmamk_f16 v72, v17, 0xbb29, v18
	v_fma_f16 v48, v74, 0x3722, -v48
	v_add_f16_e32 v21, v20, v22
	v_mul_f16_e32 v73, 0xb836, v70
	v_fmac_f16_e32 v18, 0x3b29, v17
	v_sub_f16_e32 v17, v20, v22
	v_mul_f16_e32 v20, 0xbacd, v16
	v_add_f16_e32 v22, v72, v30
	v_fmamk_f16 v30, v21, 0xbacd, v73
	v_add_f16_e32 v27, v48, v27
	v_add_f16_e32 v12, v18, v12
	v_fmamk_f16 v18, v17, 0x3836, v20
	v_mul_f16_e32 v48, 0x3b29, v70
	v_fmac_f16_e32 v20, 0xb836, v17
	v_add_f16_e32 v13, v30, v13
	v_fma_f16 v30, v21, 0xbacd, -v73
	v_add_f16_e32 v14, v18, v14
	v_fmamk_f16 v18, v21, 0x3722, v48
	v_mul_f16_e32 v72, 0x3722, v16
	v_add_f16_e32 v20, v20, v23
	v_mul_f16_e32 v23, 0xbbf7, v70
	v_add_f16_e32 v24, v30, v24
	v_add_f16_e32 v15, v18, v15
	v_fmamk_f16 v18, v17, 0xbb29, v72
	v_fma_f16 v30, v21, 0x3722, -v48
	v_fmamk_f16 v48, v21, 0x2de8, v23
	v_mul_f16_e32 v73, 0x2de8, v16
	v_fmac_f16_e32 v72, 0x3b29, v17
	v_add_f16_e32 v18, v18, v29
	v_add_f16_e32 v19, v30, v19
	;; [unrolled: 1-line block ×3, first 2 shown]
	v_fmamk_f16 v30, v17, 0x3bf7, v73
	v_mul_f16_e32 v32, 0x3a62, v70
	v_fma_f16 v23, v21, 0x2de8, -v23
	v_fmac_f16_e32 v73, 0xbbf7, v17
	v_mul_f16_e32 v48, 0xb8d2, v16
	v_add_f16_e32 v26, v72, v26
	v_add_f16_e32 v30, v30, v31
	v_fmamk_f16 v31, v21, 0xb8d2, v32
	v_add_f16_e32 v23, v23, v25
	v_add_f16_e32 v25, v73, v34
	v_fmamk_f16 v34, v17, 0xba62, v48
	v_mul_f16_e32 v72, 0xb5c8, v70
	v_fma_f16 v32, v21, 0xb8d2, -v32
	v_fmac_f16_e32 v48, 0x3a62, v17
	v_add_f16_e32 v31, v31, v38
	v_add_f16_e32 v34, v34, v37
	v_fmamk_f16 v37, v21, 0x3b76, v72
	v_mul_f16_e32 v38, 0x3b76, v16
	v_add_f16_e32 v32, v32, v33
	v_add_f16_e32 v33, v48, v36
	v_mul_f16_e32 v36, 0xb1e1, v70
	v_add_f16_e32 v37, v37, v39
	v_fmamk_f16 v39, v17, 0x35c8, v38
	v_fma_f16 v48, v21, 0x3b76, -v72
	v_fmac_f16_e32 v38, 0xb5c8, v17
	v_fmamk_f16 v72, v21, 0xbbdd, v36
	v_mul_f16_e32 v73, 0xbbdd, v16
	v_add_f16_e32 v39, v39, v44
	v_add_f16_e32 v35, v48, v35
	;; [unrolled: 1-line block ×4, first 2 shown]
	v_fmamk_f16 v42, v17, 0x31e1, v73
	v_mul_f16_e32 v44, 0x3964, v70
	v_fma_f16 v36, v21, 0xbbdd, -v36
	v_fmac_f16_e32 v73, 0xb1e1, v17
	v_mul_f16_e32 v48, 0x39e9, v16
	v_add_f16_e32 v41, v42, v41
	v_fmamk_f16 v42, v21, 0x39e9, v44
	v_add_f16_e32 v36, v36, v43
	v_add_f16_e32 v43, v73, v47
	v_fmamk_f16 v47, v17, 0xb964, v48
	v_mul_f16_e32 v70, 0xbbb2, v70
	v_fma_f16 v44, v21, 0x39e9, -v44
	v_fmac_f16_e32 v48, 0x3964, v17
	v_add_f16_e32 v42, v42, v69
	v_mul_f16_e32 v16, 0xb461, v16
	v_fmamk_f16 v69, v21, 0xb461, v70
	v_add_f16_e32 v44, v44, v45
	v_add_f16_e32 v45, v48, v46
	v_sub_f16_e32 v46, v10, v11
	v_add_f16_e32 v10, v10, v11
	v_add_f16_e32 v48, v69, v68
	v_fmamk_f16 v68, v17, 0x3bb2, v16
	v_add_f16_e32 v69, v8, v9
	v_mul_f16_e32 v11, 0xb1e1, v46
	v_fmac_f16_e32 v16, 0xbbb2, v17
	v_sub_f16_e32 v8, v8, v9
	v_mul_f16_e32 v9, 0xbbdd, v10
	v_fma_f16 v21, v21, 0xb461, -v70
	v_fmamk_f16 v17, v69, 0xbbdd, v11
	v_add_f16_e32 v12, v16, v12
	v_fma_f16 v11, v69, 0xbbdd, -v11
	v_fmamk_f16 v16, v8, 0x31e1, v9
	v_fmac_f16_e32 v9, 0xb1e1, v8
	v_add_f16_e32 v13, v17, v13
	v_mul_f16_e32 v17, 0x35c8, v46
	v_add_f16_e32 v21, v21, v27
	v_add_f16_e32 v14, v16, v14
	v_mul_f16_e32 v16, 0x3b76, v10
	v_add_f16_e32 v11, v11, v24
	v_fmamk_f16 v27, v69, 0x3b76, v17
	v_add_f16_e32 v9, v9, v20
	v_mul_f16_e32 v20, 0xb836, v46
	v_fmamk_f16 v24, v8, 0xb5c8, v16
	v_fma_f16 v17, v69, 0x3b76, -v17
	v_add_f16_e32 v15, v27, v15
	v_fmac_f16_e32 v16, 0x35c8, v8
	v_fmamk_f16 v27, v69, 0xbacd, v20
	v_add_f16_e32 v18, v24, v18
	v_mul_f16_e32 v24, 0xbacd, v10
	v_add_f16_e32 v17, v17, v19
	v_add_f16_e32 v16, v16, v26
	;; [unrolled: 1-line block ×3, first 2 shown]
	v_mul_f16_e32 v26, 0x3964, v46
	v_fmamk_f16 v27, v8, 0x3836, v24
	v_fma_f16 v20, v69, 0xbacd, -v20
	v_fmac_f16_e32 v24, 0xb836, v8
	v_mul_f16_e32 v29, 0x39e9, v10
	v_add_f16_e32 v22, v68, v22
	v_fmamk_f16 v68, v69, 0x39e9, v26
	v_add_f16_e32 v27, v27, v30
	v_add_f16_e32 v20, v20, v23
	;; [unrolled: 1-line block ×3, first 2 shown]
	v_fmamk_f16 v24, v8, 0xb964, v29
	v_mul_f16_e32 v30, 0xba62, v46
	v_fma_f16 v26, v69, 0x39e9, -v26
	v_add_f16_e32 v25, v68, v31
	v_fmac_f16_e32 v29, 0x3964, v8
	v_add_f16_e32 v24, v24, v34
	v_mul_f16_e32 v31, 0xb8d2, v10
	v_fmamk_f16 v34, v69, 0xb8d2, v30
	v_add_f16_e32 v26, v26, v32
	v_mul_f16_e32 v32, 0x3b29, v46
	v_add_f16_e32 v29, v29, v33
	v_fmamk_f16 v33, v8, 0x3a62, v31
	v_add_f16_e32 v34, v34, v37
	v_fma_f16 v30, v69, 0xb8d2, -v30
	v_fmamk_f16 v37, v69, 0x3722, v32
	v_fmac_f16_e32 v31, 0xba62, v8
	v_add_f16_e32 v33, v33, v39
	v_mul_f16_e32 v39, 0x3722, v10
	v_add_f16_e32 v30, v30, v35
	v_add_f16_e32 v35, v37, v40
	v_mul_f16_e32 v37, 0xbbb2, v46
	v_add_f16_e32 v31, v31, v38
	v_fmamk_f16 v38, v8, 0xbb29, v39
	v_fma_f16 v32, v69, 0x3722, -v32
	v_mul_f16_e32 v40, 0xb461, v10
	v_fmamk_f16 v68, v69, 0xb461, v37
	v_fmac_f16_e32 v39, 0x3b29, v8
	v_add_f16_e32 v38, v38, v41
	v_mul_f16_e32 v10, 0x2de8, v10
	v_add_f16_e32 v47, v47, v71
	v_add_f16_e32 v41, v68, v42
	v_mul_f16_e32 v42, 0x3bf7, v46
	v_add_f16_e32 v32, v32, v36
	v_fmamk_f16 v36, v8, 0x3bb2, v40
	v_add_f16_e32 v39, v39, v43
	v_fmamk_f16 v46, v8, 0xbbf7, v10
	v_fmamk_f16 v43, v69, 0x2de8, v42
	v_fma_f16 v42, v69, 0x2de8, -v42
	v_fmac_f16_e32 v10, 0x3bf7, v8
	v_fma_f16 v37, v69, 0xb461, -v37
	v_fmac_f16_e32 v40, 0xbbb2, v8
	v_add_f16_e32 v36, v36, v47
	v_add_f16_e32 v43, v43, v48
	;; [unrolled: 1-line block ×4, first 2 shown]
	v_pack_b32_f16 v8, v13, v14
	v_add_f16_e32 v10, v10, v12
	v_add_f16_e32 v37, v37, v44
	;; [unrolled: 1-line block ×3, first 2 shown]
	v_pack_b32_f16 v13, v15, v18
	v_pack_b32_f16 v14, v19, v27
	;; [unrolled: 1-line block ×6, first 2 shown]
	ds_write2_b32 v49, v7, v8 offset1:119
	ds_write2_b32 v6, v13, v14 offset0:110 offset1:229
	ds_write2_b32 v5, v15, v18 offset0:92 offset1:211
	;; [unrolled: 1-line block ×3, first 2 shown]
	v_pack_b32_f16 v7, v43, v22
	v_pack_b32_f16 v8, v21, v10
	;; [unrolled: 1-line block ×9, first 2 shown]
	ds_write2_b32 v3, v7, v8 offset0:56 offset1:175
	ds_write2_b32 v2, v10, v12 offset0:38 offset1:157
	;; [unrolled: 1-line block ×4, first 2 shown]
	ds_write_b32 v49, v9 offset:7616
	s_waitcnt lgkmcnt(0)
	s_barrier
	buffer_gl0_inv
	ds_read2_b32 v[7:8], v49 offset1:119
	v_mad_u64_u32 v[13:14], null, s10, v28, 0
	s_waitcnt lgkmcnt(0)
	v_lshrrev_b32_e32 v11, 16, v7
	v_lshrrev_b32_e32 v19, 16, v8
	v_mul_f16_sdwa v9, v67, v11 dst_sel:DWORD dst_unused:UNUSED_PAD src0_sel:WORD_1 src1_sel:DWORD
	v_mul_f16_sdwa v18, v66, v19 dst_sel:DWORD dst_unused:UNUSED_PAD src0_sel:WORD_1 src1_sel:DWORD
	v_fmac_f16_e32 v9, v67, v7
	v_mul_f16_sdwa v7, v67, v7 dst_sel:DWORD dst_unused:UNUSED_PAD src0_sel:WORD_1 src1_sel:DWORD
	v_fmac_f16_e32 v18, v66, v8
	v_cvt_f32_f16_e32 v9, v9
	v_fma_f16 v7, v67, v11, -v7
	v_cvt_f64_f32_e32 v[9:10], v9
	v_cvt_f32_f16_e32 v7, v7
	v_cvt_f64_f32_e32 v[11:12], v7
	v_mul_f64 v[9:10], v[9:10], s[2:3]
	v_mul_f64 v[11:12], v[11:12], s[2:3]
	v_and_or_b32 v7, 0x1ff, v10, v9
	v_lshrrev_b32_e32 v9, 8, v10
	v_bfe_u32 v15, v10, 20, 11
	v_cmp_ne_u32_e32 vcc_lo, 0, v7
	v_and_or_b32 v11, 0x1ff, v12, v11
	v_lshrrev_b32_e32 v20, 8, v12
	v_bfe_u32 v21, v12, 20, 11
	v_add_nc_u32_e32 v22, 0xfffffc10, v15
	v_cndmask_b32_e64 v7, 0, 1, vcc_lo
	v_cmp_ne_u32_e32 vcc_lo, 0, v11
	v_and_or_b32 v9, 0xffe, v9, v7
	v_sub_nc_u32_e32 v7, 0x3f1, v15
	v_cndmask_b32_e64 v11, 0, 1, vcc_lo
	v_or_b32_e32 v16, 0x1000, v9
	v_med3_i32 v7, v7, 0, 13
	v_and_or_b32 v11, 0xffe, v20, v11
	v_sub_nc_u32_e32 v20, 0x3f1, v21
	v_lshrrev_b32_e32 v17, v7, v16
	v_or_b32_e32 v23, 0x1000, v11
	v_lshlrev_b32_e32 v7, v7, v17
	v_cmp_ne_u32_e32 vcc_lo, v7, v16
	v_cvt_f32_f16_e32 v16, v18
	v_med3_i32 v18, v20, 0, 13
	v_lshl_or_b32 v20, v22, 12, v9
	v_cndmask_b32_e64 v7, 0, 1, vcc_lo
	v_cvt_f64_f32_e32 v[15:16], v16
	v_lshrrev_b32_e32 v24, v18, v23
	v_cmp_gt_i32_e32 vcc_lo, 1, v22
	v_or_b32_e32 v17, v17, v7
	v_mov_b32_e32 v7, v14
	v_cndmask_b32_e32 v14, v20, v17, vcc_lo
	v_lshlrev_b32_e32 v20, v18, v24
	v_mad_u64_u32 v[17:18], null, s11, v28, v[7:8]
	v_mul_f16_sdwa v7, v66, v8 dst_sel:DWORD dst_unused:UNUSED_PAD src0_sel:WORD_1 src1_sel:DWORD
	v_and_b32_e32 v8, 7, v14
	v_cmp_ne_u32_e32 vcc_lo, v20, v23
	v_add_nc_u32_e32 v20, 0xfffffc10, v21
	v_lshrrev_b32_e32 v14, 2, v14
	v_fma_f16 v7, v66, v19, -v7
	v_cmp_eq_u32_e64 s0, 3, v8
	v_cndmask_b32_e64 v18, 0, 1, vcc_lo
	v_cmp_lt_i32_e32 vcc_lo, 5, v8
	v_lshl_or_b32 v19, v20, 12, v11
	v_cvt_f32_f16_e32 v21, v7
	v_mul_f64 v[7:8], v[15:16], s[2:3]
	v_or_b32_e32 v18, v24, v18
	s_or_b32 vcc_lo, s0, vcc_lo
	v_cmp_gt_i32_e64 s1, 1, v20
	v_cvt_f64_f32_e32 v[15:16], v21
	v_add_co_ci_u32_e32 v14, vcc_lo, 0, v14, vcc_lo
	v_cmp_ne_u32_e32 vcc_lo, 0, v9
	v_cndmask_b32_e64 v18, v19, v18, s1
	v_cmp_eq_u32_e64 s1, 0x40f, v22
	v_cndmask_b32_e64 v9, 0, 1, vcc_lo
	v_cmp_gt_i32_e32 vcc_lo, 31, v22
	v_and_b32_e32 v19, 7, v18
	v_lshl_or_b32 v9, v9, 9, 0x7c00
	v_cndmask_b32_e32 v21, 0x7c00, v14, vcc_lo
	v_cmp_lt_i32_e32 vcc_lo, 5, v19
	v_cmp_eq_u32_e64 s0, 3, v19
	v_mov_b32_e32 v14, v17
	v_and_or_b32 v7, 0x1ff, v8, v7
	v_cndmask_b32_e64 v17, v21, v9, s1
	v_lshrrev_b32_e32 v9, 2, v18
	s_or_b32 vcc_lo, s0, vcc_lo
	v_lshrrev_b32_e32 v18, 16, v10
	v_lshrrev_b32_e32 v22, 8, v8
	v_bfe_u32 v23, v8, 20, 11
	v_add_co_ci_u32_e32 v19, vcc_lo, 0, v9, vcc_lo
	v_mul_f64 v[9:10], v[15:16], s[2:3]
	v_cmp_ne_u32_e32 vcc_lo, 0, v7
	ds_read2_b32 v[6:7], v6 offset0:110 offset1:229
	v_mad_u64_u32 v[15:16], null, s8, v65, 0
	v_and_or_b32 v24, 0x8000, v18, v17
	v_cndmask_b32_e64 v21, 0, 1, vcc_lo
	v_cmp_ne_u32_e32 vcc_lo, 0, v11
	v_and_or_b32 v21, 0xffe, v22, v21
	v_cndmask_b32_e64 v11, 0, 1, vcc_lo
	v_cmp_gt_i32_e32 vcc_lo, 31, v20
	v_sub_nc_u32_e32 v22, 0x3f1, v23
	v_add_nc_u32_e32 v23, 0xfffffc10, v23
	v_or_b32_e32 v17, 0x1000, v21
	v_lshl_or_b32 v11, v11, 9, 0x7c00
	v_cndmask_b32_e32 v19, 0x7c00, v19, vcc_lo
	v_cmp_eq_u32_e32 vcc_lo, 0x40f, v20
	v_med3_i32 v18, v22, 0, 13
	v_and_or_b32 v9, 0x1ff, v10, v9
	s_waitcnt lgkmcnt(0)
	v_lshrrev_b32_e32 v22, 16, v6
	v_cndmask_b32_e32 v19, v19, v11, vcc_lo
	v_mov_b32_e32 v11, v16
	v_lshrrev_b32_e32 v20, v18, v17
	v_lshrrev_b32_e32 v16, 16, v12
	v_cmp_ne_u32_e32 vcc_lo, 0, v9
	v_mul_f16_sdwa v25, v64, v22 dst_sel:DWORD dst_unused:UNUSED_PAD src0_sel:WORD_1 src1_sel:DWORD
	v_mad_u64_u32 v[11:12], null, s9, v65, v[11:12]
	v_lshlrev_b32_e32 v12, v18, v20
	v_cndmask_b32_e64 v9, 0, 1, vcc_lo
	v_lshrrev_b32_e32 v18, 8, v10
	v_bfe_u32 v26, v10, 20, 11
	v_fmac_f16_e32 v25, v64, v6
	v_cmp_ne_u32_e32 vcc_lo, v12, v17
	v_lshl_or_b32 v17, v23, 12, v21
	v_and_or_b32 v27, 0xffe, v18, v9
	v_sub_nc_u32_e32 v9, 0x3f1, v26
	v_cvt_f32_f16_e32 v18, v25
	v_cndmask_b32_e64 v12, 0, 1, vcc_lo
	v_cmp_gt_i32_e32 vcc_lo, 1, v23
	v_mul_f16_sdwa v6, v64, v6 dst_sel:DWORD dst_unused:UNUSED_PAD src0_sel:WORD_1 src1_sel:DWORD
	v_med3_i32 v9, v9, 0, 13
	v_lshrrev_b32_e32 v10, 16, v10
	v_or_b32_e32 v12, v20, v12
	v_or_b32_e32 v20, 0x1000, v27
	v_fma_f16 v6, v64, v22, -v6
	v_cndmask_b32_e32 v25, v17, v12, vcc_lo
	v_cvt_f64_f32_e32 v[17:18], v18
	v_and_or_b32 v12, 0x8000, v16, v19
	v_and_b32_e32 v19, 0xffff, v24
	v_lshrrev_b32_e32 v24, v9, v20
	v_and_b32_e32 v28, 7, v25
	v_mov_b32_e32 v16, v11
	v_cvt_f32_f16_e32 v6, v6
	v_lshl_or_b32 v19, v12, 16, v19
	v_lshlrev_b32_e32 v9, v9, v24
	v_cmp_lt_i32_e32 vcc_lo, 5, v28
	v_cmp_eq_u32_e64 s0, 3, v28
	v_lshlrev_b64 v[11:12], 2, v[13:14]
	v_lshrrev_b32_e32 v13, 2, v25
	v_cmp_ne_u32_e64 s1, v9, v20
	v_add_nc_u32_e32 v20, 0xfffffc10, v26
	s_or_b32 vcc_lo, s0, vcc_lo
	v_add_co_ci_u32_e32 v25, vcc_lo, 0, v13, vcc_lo
	v_cndmask_b32_e64 v9, 0, 1, s1
	v_cmp_ne_u32_e32 vcc_lo, 0, v21
	v_mul_f64 v[13:14], v[17:18], s[2:3]
	v_or_b32_e32 v9, v24, v9
	v_lshl_or_b32 v24, v20, 12, v27
	v_cndmask_b32_e64 v17, 0, 1, vcc_lo
	v_cmp_gt_i32_e32 vcc_lo, 1, v20
	v_lshl_or_b32 v22, v17, 9, 0x7c00
	v_cndmask_b32_e32 v21, v24, v9, vcc_lo
	v_cmp_gt_i32_e32 vcc_lo, 31, v23
	v_cvt_f64_f32_e32 v[17:18], v6
	v_and_b32_e32 v24, 7, v21
	v_cndmask_b32_e32 v9, 0x7c00, v25, vcc_lo
	v_add_co_u32 v6, vcc_lo, s4, v11
	v_add_co_ci_u32_e32 v25, vcc_lo, s5, v12, vcc_lo
	v_cmp_eq_u32_e32 vcc_lo, 0x40f, v23
	v_cmp_eq_u32_e64 s0, 3, v24
	v_lshrrev_b32_e32 v12, 16, v8
	s_mul_hi_u32 s4, s8, 0x1dc
	s_mul_i32 s5, s8, 0x1dc
	v_cndmask_b32_e32 v11, v9, v22, vcc_lo
	v_cmp_lt_i32_e32 vcc_lo, 5, v24
	v_lshlrev_b64 v[8:9], 2, v[15:16]
	v_lshrrev_b32_e32 v15, 2, v21
	v_lshrrev_b32_e32 v22, 8, v14
	v_and_or_b32 v16, 0x8000, v12, v11
	s_or_b32 vcc_lo, s0, vcc_lo
	v_and_or_b32 v11, 0x1ff, v14, v13
	v_add_co_ci_u32_e32 v13, vcc_lo, 0, v15, vcc_lo
	v_cmp_ne_u32_e32 vcc_lo, 0, v27
	s_mul_i32 s0, s9, 0x1dc
	s_add_i32 s4, s4, s0
	v_cndmask_b32_e64 v15, 0, 1, vcc_lo
	v_cmp_ne_u32_e32 vcc_lo, 0, v11
	v_mul_f64 v[11:12], v[17:18], s[2:3]
	v_bfe_u32 v17, v14, 20, 11
	v_lshl_or_b32 v15, v15, 9, 0x7c00
	v_cndmask_b32_e64 v21, 0, 1, vcc_lo
	v_cmp_gt_i32_e32 vcc_lo, 31, v20
	v_and_or_b32 v18, 0xffe, v22, v21
	v_cndmask_b32_e32 v13, 0x7c00, v13, vcc_lo
	v_sub_nc_u32_e32 v21, 0x3f1, v17
	v_lshrrev_b32_e32 v22, 16, v7
	v_cmp_eq_u32_e32 vcc_lo, 0x40f, v20
	v_med3_i32 v20, v21, 0, 13
	v_mul_f16_sdwa v21, v63, v22 dst_sel:DWORD dst_unused:UNUSED_PAD src0_sel:WORD_1 src1_sel:DWORD
	v_cndmask_b32_e32 v13, v13, v15, vcc_lo
	v_or_b32_e32 v15, 0x1000, v18
	v_add_co_u32 v8, vcc_lo, v6, v8
	v_fmac_f16_e32 v21, v63, v7
	v_and_or_b32 v6, 0x8000, v10, v13
	v_and_b32_e32 v10, 0xffff, v16
	v_lshrrev_b32_e32 v13, v20, v15
	v_and_or_b32 v11, 0x1ff, v12, v11
	v_add_co_ci_u32_e32 v9, vcc_lo, v25, v9, vcc_lo
	v_lshl_or_b32 v16, v6, 16, v10
	v_cvt_f32_f16_e32 v10, v21
	v_lshlrev_b32_e32 v6, v20, v13
	v_cmp_ne_u32_e32 vcc_lo, 0, v11
	global_store_dword v[8:9], v19, off
	v_lshrrev_b32_e32 v20, 8, v12
	v_cvt_f64_f32_e32 v[10:11], v10
	v_bfe_u32 v21, v12, 20, 11
	v_cndmask_b32_e64 v19, 0, 1, vcc_lo
	v_cmp_ne_u32_e32 vcc_lo, v6, v15
	v_add_nc_u32_e32 v15, 0xfffffc10, v17
	v_mul_f16_sdwa v7, v63, v7 dst_sel:DWORD dst_unused:UNUSED_PAD src0_sel:WORD_1 src1_sel:DWORD
	v_lshrrev_b32_e32 v12, 16, v12
	v_and_or_b32 v17, 0xffe, v20, v19
	v_cndmask_b32_e64 v6, 0, 1, vcc_lo
	v_sub_nc_u32_e32 v19, 0x3f1, v21
	v_fma_f16 v7, v63, v22, -v7
	v_cmp_gt_i32_e32 vcc_lo, 1, v15
	v_or_b32_e32 v20, 0x1000, v17
	v_or_b32_e32 v6, v13, v6
	v_lshl_or_b32 v13, v15, 12, v18
	v_med3_i32 v19, v19, 0, 13
	v_cvt_f32_f16_e32 v23, v7
	v_cndmask_b32_e32 v13, v13, v6, vcc_lo
	v_lshrrev_b32_e32 v22, v19, v20
	v_add_co_u32 v8, vcc_lo, v8, s5
	v_mul_f64 v[6:7], v[10:11], s[2:3]
	v_and_b32_e32 v24, 7, v13
	v_cvt_f64_f32_e32 v[10:11], v23
	v_lshlrev_b32_e32 v19, v19, v22
	v_add_co_ci_u32_e32 v9, vcc_lo, s4, v9, vcc_lo
	v_cmp_lt_i32_e32 vcc_lo, 5, v24
	v_cmp_eq_u32_e64 s0, 3, v24
	v_lshrrev_b32_e32 v13, 2, v13
	v_cmp_ne_u32_e64 s1, v19, v20
	v_add_nc_u32_e32 v20, 0xfffffc10, v21
	global_store_dword v[8:9], v16, off
	s_or_b32 vcc_lo, s0, vcc_lo
	v_add_co_ci_u32_e32 v13, vcc_lo, 0, v13, vcc_lo
	v_cndmask_b32_e64 v19, 0, 1, s1
	v_cmp_gt_i32_e32 vcc_lo, 31, v15
	v_lshl_or_b32 v21, v20, 12, v17
	v_cmp_eq_u32_e64 s1, 0x40f, v15
	v_or_b32_e32 v19, v22, v19
	v_cndmask_b32_e32 v13, 0x7c00, v13, vcc_lo
	v_cmp_gt_i32_e32 vcc_lo, 1, v20
	v_mul_f64 v[10:11], v[10:11], s[2:3]
	v_and_or_b32 v6, 0x1ff, v7, v6
	v_lshrrev_b32_e32 v22, 8, v7
	v_bfe_u32 v23, v7, 20, 11
	v_cndmask_b32_e32 v16, v21, v19, vcc_lo
	v_cmp_ne_u32_e32 vcc_lo, 0, v18
	v_and_b32_e32 v19, 7, v16
	v_cndmask_b32_e64 v18, 0, 1, vcc_lo
	v_cmp_ne_u32_e32 vcc_lo, 0, v6
	ds_read2_b32 v[5:6], v5 offset0:92 offset1:211
	v_cmp_eq_u32_e64 s0, 3, v19
	v_lshl_or_b32 v18, v18, 9, 0x7c00
	v_cndmask_b32_e64 v21, 0, 1, vcc_lo
	v_cmp_lt_i32_e32 vcc_lo, 5, v19
	v_cndmask_b32_e64 v15, v13, v18, s1
	v_lshrrev_b32_e32 v13, 2, v16
	v_and_or_b32 v19, 0xffe, v22, v21
	v_sub_nc_u32_e32 v21, 0x3f1, v23
	s_or_b32 vcc_lo, s0, vcc_lo
	v_and_or_b32 v10, 0x1ff, v11, v10
	v_add_co_ci_u32_e32 v13, vcc_lo, 0, v13, vcc_lo
	v_or_b32_e32 v16, 0x1000, v19
	v_med3_i32 v18, v21, 0, 13
	v_cmp_gt_i32_e32 vcc_lo, 31, v20
	v_lshrrev_b32_e32 v21, 16, v14
	s_waitcnt lgkmcnt(0)
	v_lshrrev_b32_e32 v24, 16, v5
	v_bfe_u32 v26, v11, 20, 11
	v_lshrrev_b32_e32 v14, v18, v16
	v_cndmask_b32_e32 v22, 0x7c00, v13, vcc_lo
	v_cmp_ne_u32_e32 vcc_lo, 0, v10
	v_mul_f16_sdwa v25, v62, v24 dst_sel:DWORD dst_unused:UNUSED_PAD src0_sel:WORD_1 src1_sel:DWORD
	v_and_or_b32 v21, 0x8000, v21, v15
	v_lshlrev_b32_e32 v13, v18, v14
	v_lshrrev_b32_e32 v18, 8, v11
	v_cndmask_b32_e64 v10, 0, 1, vcc_lo
	v_cmp_ne_u32_e32 vcc_lo, 0, v17
	v_fmac_f16_e32 v25, v62, v5
	v_mul_f16_sdwa v5, v62, v5 dst_sel:DWORD dst_unused:UNUSED_PAD src0_sel:WORD_1 src1_sel:DWORD
	v_and_or_b32 v10, 0xffe, v18, v10
	v_sub_nc_u32_e32 v18, 0x3f1, v26
	v_cndmask_b32_e64 v17, 0, 1, vcc_lo
	v_cmp_ne_u32_e32 vcc_lo, v13, v16
	v_add_nc_u32_e32 v16, 0xfffffc10, v23
	v_cvt_f32_f16_e32 v23, v25
	v_or_b32_e32 v25, 0x1000, v10
	v_med3_i32 v18, v18, 0, 13
	v_cndmask_b32_e64 v13, 0, 1, vcc_lo
	v_lshl_or_b32 v17, v17, 9, 0x7c00
	v_cmp_eq_u32_e32 vcc_lo, 0x40f, v20
	v_fma_f16 v5, v62, v24, -v5
	v_lshrrev_b32_e32 v28, v18, v25
	v_or_b32_e32 v27, v14, v13
	v_cvt_f64_f32_e32 v[13:14], v23
	v_lshl_or_b32 v23, v16, 12, v19
	v_cndmask_b32_e32 v17, v22, v17, vcc_lo
	v_cmp_gt_i32_e32 vcc_lo, 1, v16
	v_lshlrev_b32_e32 v18, v18, v28
	v_cvt_f32_f16_e32 v5, v5
	v_and_or_b32 v17, 0x8000, v12, v17
	v_cndmask_b32_e32 v20, v23, v27, vcc_lo
	v_cmp_ne_u32_e32 vcc_lo, v18, v25
	v_add_nc_u32_e32 v18, 0xfffffc10, v26
	v_and_b32_e32 v12, 7, v20
	v_cndmask_b32_e64 v15, 0, 1, vcc_lo
	v_lshl_or_b32 v22, v18, 12, v10
	v_cmp_gt_i32_e64 s1, 1, v18
	v_lshrrev_b32_e32 v20, 2, v20
	v_cmp_lt_i32_e32 vcc_lo, 5, v12
	v_or_b32_e32 v15, v28, v15
	v_cmp_eq_u32_e64 s0, 3, v12
	v_mul_f64 v[12:13], v[13:14], s[2:3]
	v_cndmask_b32_e64 v22, v22, v15, s1
	v_cvt_f64_f32_e32 v[14:15], v5
	s_or_b32 vcc_lo, s0, vcc_lo
	v_cmp_eq_u32_e64 s1, 0x40f, v16
	v_add_co_ci_u32_e32 v5, vcc_lo, 0, v20, vcc_lo
	v_cmp_ne_u32_e32 vcc_lo, 0, v19
	v_and_b32_e32 v20, 0xffff, v21
	v_and_b32_e32 v21, 7, v22
	v_cndmask_b32_e64 v19, 0, 1, vcc_lo
	v_cmp_gt_i32_e32 vcc_lo, 31, v16
	v_cmp_eq_u32_e64 s0, 3, v21
	v_lshrrev_b32_e32 v16, 2, v22
	v_lshl_or_b32 v17, v17, 16, v20
	v_lshl_or_b32 v19, v19, 9, 0x7c00
	v_cndmask_b32_e32 v5, 0x7c00, v5, vcc_lo
	v_cmp_lt_i32_e32 vcc_lo, 5, v21
	v_lshrrev_b32_e32 v20, 8, v13
	v_bfe_u32 v21, v13, 20, 11
	v_cndmask_b32_e64 v5, v5, v19, s1
	v_lshrrev_b32_e32 v19, 16, v7
	v_and_or_b32 v7, 0x1ff, v13, v12
	v_mul_f64 v[14:15], v[14:15], s[2:3]
	s_or_b32 vcc_lo, s0, vcc_lo
	v_add_co_ci_u32_e32 v12, vcc_lo, 0, v16, vcc_lo
	v_lshrrev_b32_e32 v16, 16, v6
	v_cmp_ne_u32_e32 vcc_lo, 0, v7
	v_and_or_b32 v5, 0x8000, v19, v5
	v_mul_f16_sdwa v22, v61, v16 dst_sel:DWORD dst_unused:UNUSED_PAD src0_sel:WORD_1 src1_sel:DWORD
	v_cndmask_b32_e64 v7, 0, 1, vcc_lo
	v_cmp_ne_u32_e32 vcc_lo, 0, v10
	v_and_b32_e32 v5, 0xffff, v5
	v_fmac_f16_e32 v22, v61, v6
	v_and_or_b32 v20, 0xffe, v20, v7
	v_cndmask_b32_e64 v10, 0, 1, vcc_lo
	v_sub_nc_u32_e32 v7, 0x3f1, v21
	v_cmp_gt_i32_e32 vcc_lo, 31, v18
	v_add_nc_u32_e32 v21, 0xfffffc10, v21
	v_or_b32_e32 v23, 0x1000, v20
	v_lshl_or_b32 v10, v10, 9, 0x7c00
	v_med3_i32 v24, v7, 0, 13
	v_cndmask_b32_e32 v12, 0x7c00, v12, vcc_lo
	v_cvt_f32_f16_e32 v7, v22
	v_cmp_eq_u32_e32 vcc_lo, 0x40f, v18
	v_and_or_b32 v14, 0x1ff, v15, v14
	v_lshrrev_b32_e32 v18, 16, v11
	v_lshrrev_b32_e32 v22, v24, v23
	v_bfe_u32 v19, v15, 20, 11
	v_cndmask_b32_e32 v12, v12, v10, vcc_lo
	v_cvt_f64_f32_e32 v[10:11], v7
	v_add_co_u32 v7, vcc_lo, v8, s5
	v_add_co_ci_u32_e32 v8, vcc_lo, s4, v9, vcc_lo
	v_cmp_ne_u32_e32 vcc_lo, 0, v14
	v_and_or_b32 v9, 0x8000, v18, v12
	v_lshlrev_b32_e32 v12, v24, v22
	v_lshrrev_b32_e32 v18, 8, v15
	global_store_dword v[7:8], v17, off
	v_cndmask_b32_e64 v14, 0, 1, vcc_lo
	v_lshl_or_b32 v24, v9, 16, v5
	v_cmp_ne_u32_e32 vcc_lo, v12, v23
	v_cmp_gt_i32_e64 s1, 31, v21
	v_lshrrev_b32_e32 v15, 16, v15
	v_and_or_b32 v14, 0xffe, v18, v14
	v_sub_nc_u32_e32 v18, 0x3f1, v19
	v_cndmask_b32_e64 v12, 0, 1, vcc_lo
	v_cmp_gt_i32_e32 vcc_lo, 1, v21
	v_or_b32_e32 v23, 0x1000, v14
	v_med3_i32 v18, v18, 0, 13
	v_or_b32_e32 v12, v22, v12
	v_lshl_or_b32 v22, v21, 12, v20
	v_mul_f64 v[9:10], v[10:11], s[2:3]
	v_lshrrev_b32_e32 v11, v18, v23
	v_cndmask_b32_e32 v12, v22, v12, vcc_lo
	v_mul_f16_sdwa v22, v61, v6 dst_sel:DWORD dst_unused:UNUSED_PAD src0_sel:WORD_1 src1_sel:DWORD
	v_add_co_u32 v5, vcc_lo, v7, s5
	v_lshlrev_b32_e32 v18, v18, v11
	v_and_b32_e32 v25, 7, v12
	v_fma_f16 v7, v61, v16, -v22
	v_add_co_ci_u32_e32 v6, vcc_lo, s4, v8, vcc_lo
	v_cmp_ne_u32_e64 s0, v18, v23
	v_cmp_lt_i32_e32 vcc_lo, 5, v25
	v_cvt_f32_f16_e32 v7, v7
	v_lshrrev_b32_e32 v12, 2, v12
	v_add_nc_u32_e32 v16, 0xfffffc10, v19
	v_cndmask_b32_e64 v8, 0, 1, s0
	v_cmp_eq_u32_e64 s0, 3, v25
	global_store_dword v[5:6], v24, off
	v_lshl_or_b32 v17, v16, 12, v14
	v_or_b32_e32 v11, v11, v8
	v_cvt_f64_f32_e32 v[7:8], v7
	s_or_b32 vcc_lo, s0, vcc_lo
	v_and_or_b32 v9, 0x1ff, v10, v9
	v_add_co_ci_u32_e32 v18, vcc_lo, 0, v12, vcc_lo
	v_cmp_gt_i32_e32 vcc_lo, 1, v16
	v_bfe_u32 v19, v10, 20, 11
	v_cndmask_b32_e64 v18, 0x7c00, v18, s1
	v_cndmask_b32_e32 v17, v17, v11, vcc_lo
	v_cmp_ne_u32_e32 vcc_lo, 0, v9
	v_lshrrev_b32_e32 v11, 8, v10
	v_sub_nc_u32_e32 v23, 0x3f1, v19
	v_add_nc_u32_e32 v19, 0xfffffc10, v19
	v_and_b32_e32 v22, 7, v17
	v_cndmask_b32_e64 v9, 0, 1, vcc_lo
	v_cmp_ne_u32_e32 vcc_lo, 0, v20
	v_lshrrev_b32_e32 v17, 2, v17
	v_cmp_eq_u32_e64 s0, 3, v22
	v_and_or_b32 v9, 0xffe, v11, v9
	v_cndmask_b32_e64 v20, 0, 1, vcc_lo
	v_cmp_lt_i32_e32 vcc_lo, 5, v22
	v_mul_f64 v[7:8], v[7:8], s[2:3]
	ds_read2_b32 v[11:12], v4 offset0:74 offset1:193
	v_or_b32_e32 v4, 0x1000, v9
	v_med3_i32 v22, v23, 0, 13
	s_or_b32 vcc_lo, s0, vcc_lo
	v_lshl_or_b32 v20, v20, 9, 0x7c00
	v_add_co_ci_u32_e32 v17, vcc_lo, 0, v17, vcc_lo
	v_cmp_eq_u32_e32 vcc_lo, 0x40f, v21
	v_lshrrev_b32_e32 v23, v22, v4
	v_cndmask_b32_e32 v18, v18, v20, vcc_lo
	v_cmp_gt_i32_e32 vcc_lo, 31, v16
	v_lshrrev_b32_e32 v20, 16, v13
	v_lshlrev_b32_e32 v13, v22, v23
	v_cndmask_b32_e32 v17, 0x7c00, v17, vcc_lo
	v_cmp_ne_u32_e32 vcc_lo, 0, v14
	s_waitcnt lgkmcnt(0)
	v_lshrrev_b32_e32 v21, 16, v11
	v_and_or_b32 v7, 0x1ff, v8, v7
	v_bfe_u32 v24, v8, 20, 11
	v_and_or_b32 v18, 0x8000, v20, v18
	v_cndmask_b32_e64 v14, 0, 1, vcc_lo
	v_cmp_ne_u32_e32 vcc_lo, v13, v4
	v_mul_f16_sdwa v13, v60, v21 dst_sel:DWORD dst_unused:UNUSED_PAD src0_sel:WORD_1 src1_sel:DWORD
	v_lshl_or_b32 v22, v14, 9, 0x7c00
	v_cndmask_b32_e64 v4, 0, 1, vcc_lo
	v_cmp_ne_u32_e32 vcc_lo, 0, v7
	v_lshl_or_b32 v14, v19, 12, v9
	v_fmac_f16_e32 v13, v60, v11
	v_mul_f16_sdwa v11, v60, v11 dst_sel:DWORD dst_unused:UNUSED_PAD src0_sel:WORD_1 src1_sel:DWORD
	v_or_b32_e32 v4, v23, v4
	v_cndmask_b32_e64 v7, 0, 1, vcc_lo
	v_lshrrev_b32_e32 v23, 8, v8
	v_cmp_gt_i32_e32 vcc_lo, 1, v19
	v_cvt_f32_f16_e32 v13, v13
	v_fma_f16 v11, v60, v21, -v11
	v_and_or_b32 v23, 0xffe, v23, v7
	v_cndmask_b32_e32 v4, v14, v4, vcc_lo
	v_sub_nc_u32_e32 v7, 0x3f1, v24
	v_cmp_eq_u32_e32 vcc_lo, 0x40f, v16
	v_cvt_f64_f32_e32 v[13:14], v13
	v_cvt_f32_f16_e32 v11, v11
	v_med3_i32 v7, v7, 0, 13
	v_cndmask_b32_e32 v16, v17, v22, vcc_lo
	v_or_b32_e32 v22, 0x1000, v23
	v_and_b32_e32 v17, 7, v4
	v_lshrrev_b32_e32 v4, 2, v4
	v_and_or_b32 v20, 0x8000, v15, v16
	v_lshrrev_b32_e32 v25, v7, v22
	v_cmp_lt_i32_e32 vcc_lo, 5, v17
	v_cmp_eq_u32_e64 s0, 3, v17
	v_and_b32_e32 v17, 0xffff, v18
	v_add_nc_u32_e32 v18, 0xfffffc10, v24
	v_lshlrev_b32_e32 v7, v7, v25
	v_cvt_f64_f32_e32 v[15:16], v11
	s_or_b32 vcc_lo, s0, vcc_lo
	v_lshl_or_b32 v17, v20, 16, v17
	v_add_co_ci_u32_e32 v4, vcc_lo, 0, v4, vcc_lo
	v_cmp_ne_u32_e32 vcc_lo, v7, v22
	v_mul_f64 v[13:14], v[13:14], s[2:3]
	v_lshl_or_b32 v11, v18, 12, v23
	v_cndmask_b32_e64 v7, 0, 1, vcc_lo
	v_cmp_ne_u32_e32 vcc_lo, 0, v9
	v_or_b32_e32 v7, v25, v7
	v_cndmask_b32_e64 v9, 0, 1, vcc_lo
	v_cmp_gt_i32_e32 vcc_lo, 31, v19
	v_lshl_or_b32 v9, v9, 9, 0x7c00
	v_cndmask_b32_e32 v4, 0x7c00, v4, vcc_lo
	v_cmp_gt_i32_e32 vcc_lo, 1, v18
	v_cndmask_b32_e32 v11, v11, v7, vcc_lo
	v_cmp_eq_u32_e32 vcc_lo, 0x40f, v19
	v_cndmask_b32_e32 v7, v4, v9, vcc_lo
	v_lshrrev_b32_e32 v9, 16, v10
	v_add_co_u32 v4, vcc_lo, v5, s5
	v_and_b32_e32 v10, 7, v11
	v_add_co_ci_u32_e32 v5, vcc_lo, s4, v6, vcc_lo
	v_and_or_b32 v19, 0x8000, v9, v7
	v_and_or_b32 v9, 0x1ff, v14, v13
	v_mul_f64 v[6:7], v[15:16], s[2:3]
	v_cmp_lt_i32_e32 vcc_lo, 5, v10
	v_cmp_eq_u32_e64 s0, 3, v10
	v_lshrrev_b32_e32 v10, 2, v11
	v_cmp_ne_u32_e64 s1, 0, v9
	v_lshrrev_b32_e32 v11, 8, v14
	v_bfe_u32 v13, v14, 20, 11
	s_or_b32 vcc_lo, s0, vcc_lo
	v_and_b32_e32 v19, 0xffff, v19
	v_cndmask_b32_e64 v9, 0, 1, s1
	v_add_co_ci_u32_e32 v10, vcc_lo, 0, v10, vcc_lo
	v_cmp_ne_u32_e32 vcc_lo, 0, v23
	global_store_dword v[4:5], v17, off
	v_and_or_b32 v15, 0xffe, v11, v9
	v_sub_nc_u32_e32 v9, 0x3f1, v13
	v_lshrrev_b32_e32 v11, 16, v12
	v_cndmask_b32_e64 v16, 0, 1, vcc_lo
	v_cmp_gt_i32_e32 vcc_lo, 31, v18
	v_or_b32_e32 v20, 0x1000, v15
	v_med3_i32 v9, v9, 0, 13
	v_mul_f16_sdwa v21, v59, v11 dst_sel:DWORD dst_unused:UNUSED_PAD src0_sel:WORD_1 src1_sel:DWORD
	v_lshl_or_b32 v16, v16, 9, 0x7c00
	v_cndmask_b32_e32 v10, 0x7c00, v10, vcc_lo
	v_and_or_b32 v6, 0x1ff, v7, v6
	v_lshrrev_b32_e32 v22, v9, v20
	v_cmp_eq_u32_e32 vcc_lo, 0x40f, v18
	v_fmac_f16_e32 v21, v59, v12
	v_bfe_u32 v23, v7, 20, 11
	v_mul_f16_sdwa v12, v59, v12 dst_sel:DWORD dst_unused:UNUSED_PAD src0_sel:WORD_1 src1_sel:DWORD
	v_lshlrev_b32_e32 v18, v9, v22
	v_cndmask_b32_e32 v10, v10, v16, vcc_lo
	v_cmp_ne_u32_e32 vcc_lo, 0, v6
	v_lshrrev_b32_e32 v16, 16, v8
	v_cvt_f32_f16_e32 v8, v21
	v_lshrrev_b32_e32 v21, 8, v7
	v_fma_f16 v11, v59, v11, -v12
	v_cndmask_b32_e64 v6, 0, 1, vcc_lo
	v_cmp_ne_u32_e32 vcc_lo, v18, v20
	v_cvt_f64_f32_e32 v[8:9], v8
	v_add_nc_u32_e32 v20, 0xfffffc10, v13
	v_sub_nc_u32_e32 v13, 0x3f1, v23
	v_and_or_b32 v6, 0xffe, v21, v6
	v_cndmask_b32_e64 v18, 0, 1, vcc_lo
	v_and_or_b32 v10, 0x8000, v16, v10
	v_cmp_gt_i32_e32 vcc_lo, 1, v20
	v_med3_i32 v13, v13, 0, 13
	v_or_b32_e32 v21, 0x1000, v6
	v_or_b32_e32 v16, v22, v18
	v_lshl_or_b32 v18, v20, 12, v15
	v_lshl_or_b32 v12, v10, 16, v19
	v_cvt_f32_f16_e32 v10, v11
	v_add_nc_u32_e32 v19, 0xfffffc10, v23
	v_lshrrev_b32_e32 v7, 16, v7
	v_cndmask_b32_e32 v16, v18, v16, vcc_lo
	v_lshrrev_b32_e32 v18, v13, v21
	v_add_co_u32 v4, vcc_lo, v4, s5
	v_add_co_ci_u32_e32 v5, vcc_lo, s4, v5, vcc_lo
	v_lshlrev_b32_e32 v13, v13, v18
	v_and_b32_e32 v17, 7, v16
	v_mul_f64 v[8:9], v[8:9], s[2:3]
	v_cvt_f64_f32_e32 v[10:11], v10
	global_store_dword v[4:5], v12, off
	v_cmp_ne_u32_e64 s0, v13, v21
	v_cmp_lt_i32_e32 vcc_lo, 5, v17
	v_lshrrev_b32_e32 v12, 2, v16
	v_lshl_or_b32 v16, v19, 12, v6
	v_cndmask_b32_e64 v13, 0, 1, s0
	v_cmp_eq_u32_e64 s0, 3, v17
	v_or_b32_e32 v13, v18, v13
	s_or_b32 vcc_lo, s0, vcc_lo
	v_add_co_ci_u32_e32 v12, vcc_lo, 0, v12, vcc_lo
	v_cmp_ne_u32_e32 vcc_lo, 0, v15
	v_and_or_b32 v8, 0x1ff, v9, v8
	v_cndmask_b32_e64 v15, 0, 1, vcc_lo
	v_cmp_gt_i32_e32 vcc_lo, 1, v19
	v_mul_f64 v[10:11], v[10:11], s[2:3]
	v_bfe_u32 v21, v9, 20, 11
	v_lshl_or_b32 v15, v15, 9, 0x7c00
	v_cndmask_b32_e32 v16, v16, v13, vcc_lo
	v_cmp_gt_i32_e32 vcc_lo, 31, v20
	v_and_b32_e32 v18, 7, v16
	v_cndmask_b32_e32 v17, 0x7c00, v12, vcc_lo
	v_cmp_ne_u32_e32 vcc_lo, 0, v8
	ds_read2_b32 v[12:13], v3 offset0:56 offset1:175
	v_lshrrev_b32_e32 v3, 8, v9
	v_cmp_eq_u32_e64 s0, 3, v18
	v_cndmask_b32_e64 v8, 0, 1, vcc_lo
	v_cmp_eq_u32_e32 vcc_lo, 0x40f, v20
	v_and_or_b32 v3, 0xffe, v3, v8
	v_cndmask_b32_e32 v17, v17, v15, vcc_lo
	v_cmp_lt_i32_e32 vcc_lo, 5, v18
	v_lshrrev_b32_e32 v18, 16, v14
	v_lshrrev_b32_e32 v14, 2, v16
	v_sub_nc_u32_e32 v8, 0x3f1, v21
	v_or_b32_e32 v15, 0x1000, v3
	s_or_b32 vcc_lo, s0, vcc_lo
	v_and_or_b32 v10, 0x1ff, v11, v10
	v_add_co_ci_u32_e32 v14, vcc_lo, 0, v14, vcc_lo
	v_med3_i32 v8, v8, 0, 13
	v_cmp_ne_u32_e32 vcc_lo, 0, v6
	s_waitcnt lgkmcnt(0)
	v_lshrrev_b32_e32 v20, 16, v12
	v_lshrrev_b32_e32 v23, 8, v11
	v_bfe_u32 v24, v11, 20, 11
	v_lshrrev_b32_e32 v16, v8, v15
	v_cndmask_b32_e64 v6, 0, 1, vcc_lo
	v_cmp_gt_i32_e32 vcc_lo, 31, v19
	v_add_nc_u32_e32 v21, 0xfffffc10, v21
	v_and_or_b32 v17, 0x8000, v18, v17
	v_lshlrev_b32_e32 v8, v8, v16
	v_lshl_or_b32 v6, v6, 9, 0x7c00
	v_cndmask_b32_e32 v22, 0x7c00, v14, vcc_lo
	v_cmp_ne_u32_e32 vcc_lo, 0, v10
	v_mul_f16_sdwa v14, v58, v20 dst_sel:DWORD dst_unused:UNUSED_PAD src0_sel:WORD_1 src1_sel:DWORD
	v_and_b32_e32 v17, 0xffff, v17
	v_lshrrev_b32_e32 v11, 16, v11
	v_cndmask_b32_e64 v10, 0, 1, vcc_lo
	v_cmp_ne_u32_e32 vcc_lo, v8, v15
	v_sub_nc_u32_e32 v15, 0x3f1, v24
	v_fmac_f16_e32 v14, v58, v12
	v_mul_f16_sdwa v12, v58, v12 dst_sel:DWORD dst_unused:UNUSED_PAD src0_sel:WORD_1 src1_sel:DWORD
	v_and_or_b32 v10, 0xffe, v23, v10
	v_cndmask_b32_e64 v8, 0, 1, vcc_lo
	v_med3_i32 v25, v15, 0, 13
	v_cmp_gt_i32_e32 vcc_lo, 1, v21
	v_cvt_f32_f16_e32 v14, v14
	v_or_b32_e32 v23, 0x1000, v10
	v_or_b32_e32 v8, v16, v8
	v_lshl_or_b32 v16, v21, 12, v3
	v_cvt_f64_f32_e32 v[14:15], v14
	v_cndmask_b32_e32 v8, v16, v8, vcc_lo
	v_lshrrev_b32_e32 v16, v25, v23
	v_cmp_eq_u32_e32 vcc_lo, 0x40f, v19
	v_and_b32_e32 v18, 7, v8
	v_lshlrev_b32_e32 v19, v25, v16
	v_cndmask_b32_e32 v6, v22, v6, vcc_lo
	v_lshrrev_b32_e32 v8, 2, v8
	v_cmp_lt_i32_e32 vcc_lo, 5, v18
	v_cmp_ne_u32_e64 s0, v19, v23
	v_and_or_b32 v22, 0x8000, v7, v6
	v_fma_f16 v6, v58, v20, -v12
	v_add_nc_u32_e32 v12, 0xfffffc10, v24
	v_lshrrev_b32_e32 v20, 16, v9
	v_cndmask_b32_e64 v7, 0, 1, s0
	v_cmp_eq_u32_e64 s0, 3, v18
	v_cvt_f32_f16_e32 v18, v6
	v_lshl_or_b32 v19, v12, 12, v10
	v_lshl_or_b32 v17, v22, 16, v17
	v_or_b32_e32 v16, v16, v7
	s_or_b32 vcc_lo, s0, vcc_lo
	v_mul_f64 v[6:7], v[14:15], s[2:3]
	v_add_co_ci_u32_e32 v8, vcc_lo, 0, v8, vcc_lo
	v_cmp_ne_u32_e32 vcc_lo, 0, v3
	v_cvt_f64_f32_e32 v[14:15], v18
	v_cndmask_b32_e64 v3, 0, 1, vcc_lo
	v_cmp_gt_i32_e32 vcc_lo, 1, v12
	v_lshl_or_b32 v18, v3, 9, 0x7c00
	v_cndmask_b32_e32 v16, v19, v16, vcc_lo
	v_cmp_gt_i32_e32 vcc_lo, 31, v21
	v_and_b32_e32 v19, 7, v16
	v_cndmask_b32_e32 v8, 0x7c00, v8, vcc_lo
	v_add_co_u32 v3, vcc_lo, v4, s5
	v_add_co_ci_u32_e32 v4, vcc_lo, s4, v5, vcc_lo
	v_cmp_eq_u32_e32 vcc_lo, 0x40f, v21
	v_cmp_eq_u32_e64 s0, 3, v19
	v_lshrrev_b32_e32 v9, 2, v16
	v_bfe_u32 v16, v7, 20, 11
	global_store_dword v[3:4], v17, off
	v_cndmask_b32_e32 v18, v8, v18, vcc_lo
	v_and_or_b32 v8, 0x1ff, v7, v6
	v_mul_f64 v[5:6], v[14:15], s[2:3]
	v_cmp_lt_i32_e32 vcc_lo, 5, v19
	v_lshrrev_b32_e32 v14, 16, v13
	v_lshrrev_b32_e32 v15, 8, v7
	v_cmp_ne_u32_e64 s1, 0, v8
	v_and_or_b32 v18, 0x8000, v20, v18
	s_or_b32 vcc_lo, s0, vcc_lo
	v_mul_f16_sdwa v19, v57, v14 dst_sel:DWORD dst_unused:UNUSED_PAD src0_sel:WORD_1 src1_sel:DWORD
	v_add_co_ci_u32_e32 v9, vcc_lo, 0, v9, vcc_lo
	v_cndmask_b32_e64 v8, 0, 1, s1
	v_cmp_ne_u32_e32 vcc_lo, 0, v10
	v_fmac_f16_e32 v19, v57, v13
	v_mul_f16_sdwa v13, v57, v13 dst_sel:DWORD dst_unused:UNUSED_PAD src0_sel:WORD_1 src1_sel:DWORD
	v_and_b32_e32 v18, 0xffff, v18
	v_and_or_b32 v15, 0xffe, v15, v8
	v_sub_nc_u32_e32 v8, 0x3f1, v16
	v_cndmask_b32_e64 v10, 0, 1, vcc_lo
	v_cmp_gt_i32_e32 vcc_lo, 31, v12
	v_add_nc_u32_e32 v16, 0xfffffc10, v16
	v_or_b32_e32 v21, 0x1000, v15
	v_med3_i32 v22, v8, 0, 13
	v_cvt_f32_f16_e32 v8, v19
	v_cndmask_b32_e32 v19, 0x7c00, v9, vcc_lo
	v_lshl_or_b32 v10, v10, 9, 0x7c00
	v_and_or_b32 v5, 0x1ff, v6, v5
	v_lshrrev_b32_e32 v23, v22, v21
	v_cmp_eq_u32_e32 vcc_lo, 0x40f, v12
	v_cvt_f64_f32_e32 v[8:9], v8
	v_bfe_u32 v20, v6, 20, 11
	v_fma_f16 v13, v57, v14, -v13
	v_lshlrev_b32_e32 v12, v22, v23
	v_cndmask_b32_e32 v10, v19, v10, vcc_lo
	v_cmp_ne_u32_e32 vcc_lo, 0, v5
	v_lshrrev_b32_e32 v19, 8, v6
	v_cvt_f32_f16_e32 v13, v13
	v_lshrrev_b32_e32 v7, 16, v7
	v_and_or_b32 v10, 0x8000, v11, v10
	v_cndmask_b32_e64 v5, 0, 1, vcc_lo
	v_cmp_ne_u32_e32 vcc_lo, v12, v21
	v_lshl_or_b32 v21, v16, 12, v15
	v_lshrrev_b32_e32 v6, 16, v6
	v_lshl_or_b32 v14, v10, 16, v18
	v_and_or_b32 v5, 0xffe, v19, v5
	v_cndmask_b32_e64 v12, 0, 1, vcc_lo
	v_sub_nc_u32_e32 v19, 0x3f1, v20
	v_cmp_gt_i32_e32 vcc_lo, 1, v16
	v_add_nc_u32_e32 v18, 0xfffffc10, v20
	v_or_b32_e32 v11, 0x1000, v5
	v_or_b32_e32 v12, v23, v12
	v_med3_i32 v19, v19, 0, 13
	v_mul_f64 v[8:9], v[8:9], s[2:3]
	v_cndmask_b32_e32 v12, v21, v12, vcc_lo
	v_lshrrev_b32_e32 v21, v19, v11
	v_and_b32_e32 v22, 7, v12
	v_lshlrev_b32_e32 v10, v19, v21
	v_lshrrev_b32_e32 v12, 2, v12
	v_cmp_lt_i32_e32 vcc_lo, 5, v22
	v_cmp_eq_u32_e64 s0, 3, v22
	v_cmp_ne_u32_e64 s1, v10, v11
	v_cvt_f64_f32_e32 v[10:11], v13
	v_lshl_or_b32 v13, v18, 12, v5
	s_or_b32 vcc_lo, s0, vcc_lo
	v_cndmask_b32_e64 v17, 0, 1, s1
	v_add_co_ci_u32_e32 v19, vcc_lo, 0, v12, vcc_lo
	v_cmp_ne_u32_e32 vcc_lo, 0, v15
	v_and_or_b32 v8, 0x1ff, v9, v8
	v_or_b32_e32 v12, v21, v17
	v_bfe_u32 v20, v9, 20, 11
	v_cndmask_b32_e64 v15, 0, 1, vcc_lo
	v_cmp_gt_i32_e32 vcc_lo, 1, v18
	v_lshl_or_b32 v15, v15, 9, 0x7c00
	v_cndmask_b32_e32 v17, v13, v12, vcc_lo
	v_cmp_ne_u32_e32 vcc_lo, 0, v8
	ds_read2_b32 v[12:13], v2 offset0:38 offset1:157
	v_lshrrev_b32_e32 v8, 8, v9
	v_mul_f64 v[10:11], v[10:11], s[2:3]
	v_and_b32_e32 v21, 7, v17
	v_cndmask_b32_e64 v2, 0, 1, vcc_lo
	v_cmp_gt_i32_e32 vcc_lo, 31, v16
	v_lshrrev_b32_e32 v9, 16, v9
	v_cmp_eq_u32_e64 s0, 3, v21
	v_and_or_b32 v22, 0xffe, v8, v2
	v_cndmask_b32_e32 v19, 0x7c00, v19, vcc_lo
	v_cmp_eq_u32_e32 vcc_lo, 0x40f, v16
	v_sub_nc_u32_e32 v2, 0x3f1, v20
	v_cndmask_b32_e32 v8, v19, v15, vcc_lo
	v_cmp_lt_i32_e32 vcc_lo, 5, v21
	v_or_b32_e32 v15, 0x1000, v22
	v_med3_i32 v2, v2, 0, 13
	v_and_or_b32 v16, 0x8000, v7, v8
	v_lshrrev_b32_e32 v7, 2, v17
	s_or_b32 vcc_lo, s0, vcc_lo
	s_waitcnt lgkmcnt(0)
	v_lshrrev_b32_e32 v17, 16, v12
	v_lshrrev_b32_e32 v19, v2, v15
	v_bfe_u32 v23, v11, 20, 11
	v_add_co_ci_u32_e32 v7, vcc_lo, 0, v7, vcc_lo
	v_cmp_ne_u32_e32 vcc_lo, 0, v5
	v_mul_f16_sdwa v8, v56, v17 dst_sel:DWORD dst_unused:UNUSED_PAD src0_sel:WORD_1 src1_sel:DWORD
	v_lshlrev_b32_e32 v2, v2, v19
	v_and_b32_e32 v16, 0xffff, v16
	v_cndmask_b32_e64 v5, 0, 1, vcc_lo
	v_cmp_gt_i32_e32 vcc_lo, 31, v18
	v_fmac_f16_e32 v8, v56, v12
	v_mul_f16_sdwa v12, v56, v12 dst_sel:DWORD dst_unused:UNUSED_PAD src0_sel:WORD_1 src1_sel:DWORD
	v_lshl_or_b32 v5, v5, 9, 0x7c00
	v_cndmask_b32_e32 v21, 0x7c00, v7, vcc_lo
	v_and_or_b32 v7, 0x1ff, v11, v10
	v_cmp_ne_u32_e32 vcc_lo, v2, v15
	v_cvt_f32_f16_e32 v8, v8
	v_add_nc_u32_e32 v10, 0xfffffc10, v20
	v_lshrrev_b32_e32 v20, 8, v11
	v_lshrrev_b32_e32 v11, 16, v11
	v_cndmask_b32_e64 v2, 0, 1, vcc_lo
	v_cmp_ne_u32_e32 vcc_lo, 0, v7
	v_cvt_f64_f32_e32 v[7:8], v8
	v_or_b32_e32 v2, v19, v2
	v_cndmask_b32_e64 v15, 0, 1, vcc_lo
	v_sub_nc_u32_e32 v19, 0x3f1, v23
	v_cmp_eq_u32_e32 vcc_lo, 0x40f, v18
	v_lshl_or_b32 v18, v10, 12, v22
	v_and_or_b32 v15, 0xffe, v20, v15
	v_med3_i32 v19, v19, 0, 13
	v_cndmask_b32_e32 v5, v21, v5, vcc_lo
	v_cmp_gt_i32_e32 vcc_lo, 1, v10
	v_or_b32_e32 v20, 0x1000, v15
	v_and_or_b32 v6, 0x8000, v6, v5
	v_cndmask_b32_e32 v18, v18, v2, vcc_lo
	v_add_co_u32 v2, vcc_lo, v3, s5
	v_lshrrev_b32_e32 v21, v19, v20
	v_add_co_ci_u32_e32 v3, vcc_lo, s4, v4, vcc_lo
	v_mul_f64 v[4:5], v[7:8], s[2:3]
	v_and_b32_e32 v24, 7, v18
	v_lshlrev_b32_e32 v7, v19, v21
	v_lshl_or_b32 v16, v6, 16, v16
	v_fma_f16 v6, v56, v17, -v12
	v_lshrrev_b32_e32 v12, 2, v18
	v_cmp_lt_i32_e32 vcc_lo, 5, v24
	v_cmp_ne_u32_e64 s0, v7, v20
	v_add_nc_u32_e32 v8, 0xfffffc10, v23
	v_cvt_f32_f16_e32 v6, v6
	global_store_dword v[2:3], v14, off
	v_cndmask_b32_e64 v7, 0, 1, s0
	v_cmp_eq_u32_e64 s0, 3, v24
	v_lshl_or_b32 v17, v8, 12, v15
	v_or_b32_e32 v14, v21, v7
	s_or_b32 vcc_lo, s0, vcc_lo
	v_cvt_f64_f32_e32 v[6:7], v6
	v_add_co_ci_u32_e32 v12, vcc_lo, 0, v12, vcc_lo
	v_cmp_ne_u32_e32 vcc_lo, 0, v22
	v_and_or_b32 v4, 0x1ff, v5, v4
	v_lshrrev_b32_e32 v19, 8, v5
	v_bfe_u32 v20, v5, 20, 11
	v_cndmask_b32_e64 v18, 0, 1, vcc_lo
	v_cmp_gt_i32_e32 vcc_lo, 1, v8
	v_cndmask_b32_e32 v14, v17, v14, vcc_lo
	v_cmp_gt_i32_e32 vcc_lo, 31, v10
	v_lshl_or_b32 v17, v18, 9, 0x7c00
	v_and_b32_e32 v18, 7, v14
	v_cndmask_b32_e32 v12, 0x7c00, v12, vcc_lo
	v_cmp_ne_u32_e32 vcc_lo, 0, v4
	v_mul_f64 v[6:7], v[6:7], s[2:3]
	v_lshrrev_b32_e32 v14, 2, v14
	v_cmp_eq_u32_e64 s0, 3, v18
	v_cndmask_b32_e64 v4, 0, 1, vcc_lo
	v_cmp_eq_u32_e32 vcc_lo, 0x40f, v10
	v_and_or_b32 v4, 0xffe, v19, v4
	v_cndmask_b32_e32 v10, v12, v17, vcc_lo
	v_cmp_lt_i32_e32 vcc_lo, 5, v18
	v_sub_nc_u32_e32 v12, 0x3f1, v20
	v_lshrrev_b32_e32 v18, 16, v13
	v_or_b32_e32 v17, 0x1000, v4
	v_and_or_b32 v10, 0x8000, v9, v10
	s_or_b32 vcc_lo, s0, vcc_lo
	v_med3_i32 v12, v12, 0, 13
	v_add_co_ci_u32_e32 v14, vcc_lo, 0, v14, vcc_lo
	v_cmp_ne_u32_e32 vcc_lo, 0, v15
	v_mul_f16_sdwa v21, v55, v18 dst_sel:DWORD dst_unused:UNUSED_PAD src0_sel:WORD_1 src1_sel:DWORD
	v_lshrrev_b32_e32 v19, v12, v17
	v_and_or_b32 v6, 0x1ff, v7, v6
	v_and_b32_e32 v10, 0xffff, v10
	v_cndmask_b32_e64 v15, 0, 1, vcc_lo
	v_cmp_gt_i32_e32 vcc_lo, 31, v8
	v_lshlrev_b32_e32 v9, v12, v19
	v_fmac_f16_e32 v21, v55, v13
	v_mul_f16_sdwa v13, v55, v13 dst_sel:DWORD dst_unused:UNUSED_PAD src0_sel:WORD_1 src1_sel:DWORD
	v_lshl_or_b32 v15, v15, 9, 0x7c00
	v_cndmask_b32_e32 v14, 0x7c00, v14, vcc_lo
	v_cmp_eq_u32_e32 vcc_lo, 0x40f, v8
	v_cvt_f32_f16_e32 v8, v21
	v_fma_f16 v13, v55, v18, -v13
	v_cndmask_b32_e32 v12, v14, v15, vcc_lo
	v_cmp_ne_u32_e32 vcc_lo, v9, v17
	v_cvt_f64_f32_e32 v[8:9], v8
	v_add_nc_u32_e32 v17, 0xfffffc10, v20
	v_lshrrev_b32_e32 v15, 8, v7
	v_bfe_u32 v20, v7, 20, 11
	v_cndmask_b32_e64 v14, 0, 1, vcc_lo
	v_cmp_ne_u32_e32 vcc_lo, 0, v6
	v_and_or_b32 v11, 0x8000, v11, v12
	v_cvt_f32_f16_e32 v13, v13
	v_add_nc_u32_e32 v18, 0xfffffc10, v20
	v_or_b32_e32 v12, v19, v14
	v_cndmask_b32_e64 v6, 0, 1, vcc_lo
	v_lshl_or_b32 v14, v17, 12, v4
	v_cmp_gt_i32_e32 vcc_lo, 1, v17
	v_lshl_or_b32 v19, v11, 16, v10
	v_and_or_b32 v6, 0xffe, v15, v6
	v_sub_nc_u32_e32 v15, 0x3f1, v20
	v_cndmask_b32_e32 v12, v14, v12, vcc_lo
	v_add_co_u32 v2, vcc_lo, v2, s5
	v_or_b32_e32 v14, 0x1000, v6
	v_med3_i32 v15, v15, 0, 13
	v_add_co_ci_u32_e32 v3, vcc_lo, s4, v3, vcc_lo
	v_and_b32_e32 v21, 7, v12
	v_mul_f64 v[8:9], v[8:9], s[2:3]
	v_lshrrev_b32_e32 v22, v15, v14
	v_add_co_u32 v10, vcc_lo, v2, s5
	v_add_co_ci_u32_e32 v11, vcc_lo, s4, v3, vcc_lo
	v_lshlrev_b32_e32 v15, v15, v22
	v_cmp_lt_i32_e32 vcc_lo, 5, v21
	v_cmp_eq_u32_e64 s0, 3, v21
	v_lshrrev_b32_e32 v12, 2, v12
	v_cmp_ne_u32_e64 s1, v15, v14
	s_or_b32 vcc_lo, s0, vcc_lo
	v_add_co_ci_u32_e32 v20, vcc_lo, 0, v12, vcc_lo
	v_cndmask_b32_e64 v14, 0, 1, s1
	v_cmp_ne_u32_e32 vcc_lo, 0, v4
	v_cvt_f64_f32_e32 v[12:13], v13
	v_or_b32_e32 v21, v22, v14
	v_lshl_or_b32 v22, v18, 12, v6
	ds_read2_b32 v[14:15], v1 offset0:20 offset1:139
	v_cndmask_b32_e64 v1, 0, 1, vcc_lo
	v_cmp_gt_i32_e32 vcc_lo, 1, v18
	v_and_or_b32 v4, 0x1ff, v9, v8
	v_bfe_u32 v23, v9, 20, 11
	global_store_dword v[2:3], v16, off
	global_store_dword v[10:11], v19, off
	v_lshl_or_b32 v1, v1, 9, 0x7c00
	v_cndmask_b32_e32 v21, v22, v21, vcc_lo
	v_cmp_gt_i32_e32 vcc_lo, 31, v17
	v_lshrrev_b32_e32 v22, 8, v9
	v_cndmask_b32_e32 v8, 0x7c00, v20, vcc_lo
	v_cmp_ne_u32_e32 vcc_lo, 0, v4
	v_and_b32_e32 v20, 7, v21
	v_cndmask_b32_e64 v4, 0, 1, vcc_lo
	v_cmp_eq_u32_e32 vcc_lo, 0x40f, v17
	v_cmp_eq_u32_e64 s0, 3, v20
	v_and_or_b32 v17, 0xffe, v22, v4
	v_cndmask_b32_e32 v1, v8, v1, vcc_lo
	v_cmp_lt_i32_e32 vcc_lo, 5, v20
	v_lshrrev_b32_e32 v8, 16, v5
	v_mul_f64 v[4:5], v[12:13], s[2:3]
	v_lshrrev_b32_e32 v13, 2, v21
	v_sub_nc_u32_e32 v22, 0x3f1, v23
	s_or_b32 vcc_lo, s0, vcc_lo
	v_or_b32_e32 v20, 0x1000, v17
	s_waitcnt lgkmcnt(0)
	v_lshrrev_b32_e32 v12, 16, v14
	v_add_co_ci_u32_e32 v13, vcc_lo, 0, v13, vcc_lo
	v_med3_i32 v21, v22, 0, 13
	v_cmp_ne_u32_e32 vcc_lo, 0, v6
	v_mul_f16_sdwa v22, v54, v12 dst_sel:DWORD dst_unused:UNUSED_PAD src0_sel:WORD_1 src1_sel:DWORD
	v_and_or_b32 v1, 0x8000, v8, v1
	v_lshrrev_b32_e32 v24, v21, v20
	v_cndmask_b32_e64 v6, 0, 1, vcc_lo
	v_cmp_gt_i32_e32 vcc_lo, 31, v18
	v_fmac_f16_e32 v22, v54, v14
	v_and_b32_e32 v1, 0xffff, v1
	v_lshlrev_b32_e32 v8, v21, v24
	v_lshl_or_b32 v6, v6, 9, 0x7c00
	v_cndmask_b32_e32 v13, 0x7c00, v13, vcc_lo
	v_cmp_eq_u32_e32 vcc_lo, 0x40f, v18
	v_and_or_b32 v4, 0x1ff, v5, v4
	v_cvt_f32_f16_e32 v21, v22
	v_lshrrev_b32_e32 v18, 16, v7
	v_bfe_u32 v22, v5, 20, 11
	v_cndmask_b32_e32 v13, v13, v6, vcc_lo
	v_cmp_ne_u32_e32 vcc_lo, v8, v20
	v_cvt_f64_f32_e32 v[6:7], v21
	v_add_nc_u32_e32 v20, 0xfffffc10, v23
	v_lshrrev_b32_e32 v21, 8, v5
	v_and_or_b32 v13, 0x8000, v18, v13
	v_cndmask_b32_e64 v8, 0, 1, vcc_lo
	v_cmp_ne_u32_e32 vcc_lo, 0, v4
	v_lshl_or_b32 v18, v20, 12, v17
	v_lshrrev_b32_e32 v5, 16, v5
	v_lshl_or_b32 v13, v13, 16, v1
	v_or_b32_e32 v8, v24, v8
	v_cndmask_b32_e64 v4, 0, 1, vcc_lo
	v_cmp_gt_i32_e32 vcc_lo, 1, v20
	v_and_or_b32 v21, 0xffe, v21, v4
	v_sub_nc_u32_e32 v4, 0x3f1, v22
	v_cndmask_b32_e32 v8, v18, v8, vcc_lo
	v_add_co_u32 v3, vcc_lo, v10, s5
	v_or_b32_e32 v18, 0x1000, v21
	v_med3_i32 v23, v4, 0, 13
	v_and_b32_e32 v16, 7, v8
	v_mul_f64 v[1:2], v[6:7], s[2:3]
	v_add_co_ci_u32_e32 v4, vcc_lo, s4, v11, vcc_lo
	v_lshrrev_b32_e32 v19, v23, v18
	v_cmp_lt_i32_e32 vcc_lo, 5, v16
	v_cmp_eq_u32_e64 s0, 3, v16
	v_mul_f16_sdwa v7, v54, v14 dst_sel:DWORD dst_unused:UNUSED_PAD src0_sel:WORD_1 src1_sel:DWORD
	v_lshrrev_b32_e32 v8, 2, v8
	v_lshlrev_b32_e32 v6, v23, v19
	v_add_nc_u32_e32 v10, 0xfffffc10, v22
	s_or_b32 vcc_lo, s0, vcc_lo
	v_fma_f16 v7, v54, v12, -v7
	v_add_co_ci_u32_e32 v8, vcc_lo, 0, v8, vcc_lo
	v_cmp_ne_u32_e64 s1, v6, v18
	v_cmp_ne_u32_e32 vcc_lo, 0, v17
	v_cvt_f32_f16_e32 v7, v7
	v_lshl_or_b32 v12, v10, 12, v21
	global_store_dword v[3:4], v13, off
	v_cndmask_b32_e64 v6, 0, 1, s1
	v_cndmask_b32_e64 v14, 0, 1, vcc_lo
	v_cmp_gt_i32_e32 vcc_lo, 1, v10
	v_and_or_b32 v1, 0x1ff, v2, v1
	v_lshrrev_b32_e32 v16, 8, v2
	v_or_b32_e32 v11, v19, v6
	v_cvt_f64_f32_e32 v[6:7], v7
	v_bfe_u32 v17, v2, 20, 11
	v_lshrrev_b32_e32 v2, 16, v2
	v_cndmask_b32_e32 v11, v12, v11, vcc_lo
	v_cmp_gt_i32_e32 vcc_lo, 31, v20
	v_lshl_or_b32 v12, v14, 9, 0x7c00
	v_and_b32_e32 v14, 7, v11
	v_cndmask_b32_e32 v8, 0x7c00, v8, vcc_lo
	v_cmp_ne_u32_e32 vcc_lo, 0, v1
	v_cmp_eq_u32_e64 s0, 3, v14
	v_cndmask_b32_e64 v1, 0, 1, vcc_lo
	v_cmp_eq_u32_e32 vcc_lo, 0x40f, v20
	v_and_or_b32 v16, 0xffe, v16, v1
	v_cndmask_b32_e32 v12, v8, v12, vcc_lo
	v_cmp_lt_i32_e32 vcc_lo, 5, v14
	v_lshrrev_b32_e32 v8, 2, v11
	v_lshrrev_b32_e32 v14, 16, v15
	v_mul_f64 v[6:7], v[6:7], s[2:3]
	v_sub_nc_u32_e32 v1, 0x3f1, v17
	s_or_b32 vcc_lo, s0, vcc_lo
	v_or_b32_e32 v11, 0x1000, v16
	v_add_co_ci_u32_e32 v8, vcc_lo, 0, v8, vcc_lo
	v_mul_f16_sdwa v18, v53, v14 dst_sel:DWORD dst_unused:UNUSED_PAD src0_sel:WORD_1 src1_sel:DWORD
	v_cmp_ne_u32_e32 vcc_lo, 0, v21
	v_med3_i32 v1, v1, 0, 13
	v_lshrrev_b32_e32 v21, 16, v9
	v_fmac_f16_e32 v18, v53, v15
	v_cndmask_b32_e64 v19, 0, 1, vcc_lo
	v_cmp_gt_i32_e32 vcc_lo, 31, v10
	v_lshrrev_b32_e32 v20, v1, v11
	v_and_or_b32 v12, 0x8000, v21, v12
	v_cvt_f32_f16_e32 v9, v18
	v_lshl_or_b32 v19, v19, 9, 0x7c00
	v_cndmask_b32_e32 v8, 0x7c00, v8, vcc_lo
	v_cmp_eq_u32_e32 vcc_lo, 0x40f, v10
	v_lshlrev_b32_e32 v1, v1, v20
	v_and_b32_e32 v12, 0xffff, v12
	v_and_or_b32 v6, 0x1ff, v7, v6
	v_bfe_u32 v18, v7, 20, 11
	v_cndmask_b32_e32 v10, v8, v19, vcc_lo
	v_cvt_f64_f32_e32 v[8:9], v9
	v_cmp_ne_u32_e32 vcc_lo, v1, v11
	v_add_nc_u32_e32 v11, 0xfffffc10, v17
	v_lshrrev_b32_e32 v17, 8, v7
	v_and_or_b32 v5, 0x8000, v5, v10
	v_cndmask_b32_e64 v1, 0, 1, vcc_lo
	v_cmp_ne_u32_e32 vcc_lo, 0, v6
	v_lshl_or_b32 v10, v11, 12, v16
	v_lshl_or_b32 v12, v5, 16, v12
	v_or_b32_e32 v1, v20, v1
	v_cndmask_b32_e64 v6, 0, 1, vcc_lo
	v_cmp_gt_i32_e32 vcc_lo, 1, v11
	v_and_or_b32 v17, 0xffe, v17, v6
	v_cndmask_b32_e32 v1, v10, v1, vcc_lo
	v_sub_nc_u32_e32 v10, 0x3f1, v18
	v_add_co_u32 v3, vcc_lo, v3, s5
	v_mul_f64 v[5:6], v[8:9], s[2:3]
	v_or_b32_e32 v19, 0x1000, v17
	v_med3_i32 v8, v10, 0, 13
	v_and_b32_e32 v13, 7, v1
	v_add_co_ci_u32_e32 v4, vcc_lo, s4, v4, vcc_lo
	v_lshrrev_b32_e32 v1, 2, v1
	v_lshrrev_b32_e32 v10, v8, v19
	v_cmp_lt_i32_e32 vcc_lo, 5, v13
	v_cmp_eq_u32_e64 s0, 3, v13
	global_store_dword v[3:4], v12, off
	v_mul_f16_sdwa v9, v53, v15 dst_sel:DWORD dst_unused:UNUSED_PAD src0_sel:WORD_1 src1_sel:DWORD
	v_lshlrev_b32_e32 v8, v8, v10
	s_or_b32 vcc_lo, s0, vcc_lo
	v_add_co_ci_u32_e32 v12, vcc_lo, 0, v1, vcc_lo
	v_cmp_ne_u32_e32 vcc_lo, v8, v19
	v_fma_f16 v9, v53, v14, -v9
	ds_read2_b32 v[0:1], v0 offset0:130 offset1:249
	v_add_nc_u32_e32 v14, 0xfffffc10, v18
	v_and_or_b32 v5, 0x1ff, v6, v5
	v_cndmask_b32_e64 v13, 0, 1, vcc_lo
	v_cmp_gt_i32_e32 vcc_lo, 31, v11
	v_cvt_f32_f16_e32 v8, v9
	v_lshrrev_b32_e32 v15, 8, v6
	v_bfe_u32 v18, v6, 20, 11
	v_or_b32_e32 v10, v10, v13
	v_cndmask_b32_e32 v12, 0x7c00, v12, vcc_lo
	v_cmp_ne_u32_e32 vcc_lo, 0, v5
	v_cvt_f64_f32_e32 v[8:9], v8
	v_lshl_or_b32 v13, v14, 12, v17
	v_cndmask_b32_e64 v5, 0, 1, vcc_lo
	v_cmp_ne_u32_e32 vcc_lo, 0, v16
	v_and_or_b32 v5, 0xffe, v15, v5
	v_cndmask_b32_e64 v16, 0, 1, vcc_lo
	v_cmp_gt_i32_e32 vcc_lo, 1, v14
	s_waitcnt lgkmcnt(0)
	v_lshrrev_b32_e32 v15, 16, v0
	v_lshrrev_b32_e32 v22, 16, v1
	v_or_b32_e32 v20, 0x1000, v5
	v_lshl_or_b32 v16, v16, 9, 0x7c00
	v_cndmask_b32_e32 v10, v13, v10, vcc_lo
	v_sub_nc_u32_e32 v13, 0x3f1, v18
	v_cmp_eq_u32_e32 vcc_lo, 0x40f, v11
	v_mul_f16_sdwa v21, v52, v15 dst_sel:DWORD dst_unused:UNUSED_PAD src0_sel:WORD_1 src1_sel:DWORD
	v_add_nc_u32_e32 v18, 0xfffffc10, v18
	v_and_b32_e32 v19, 7, v10
	v_med3_i32 v13, v13, 0, 13
	v_cndmask_b32_e32 v12, v12, v16, vcc_lo
	v_lshrrev_b32_e32 v10, 2, v10
	v_mul_f64 v[8:9], v[8:9], s[2:3]
	v_cmp_lt_i32_e32 vcc_lo, 5, v19
	v_cmp_eq_u32_e64 s0, 3, v19
	v_lshrrev_b32_e32 v16, v13, v20
	v_fmac_f16_e32 v21, v52, v0
	v_and_or_b32 v2, 0x8000, v2, v12
	v_mul_f16_sdwa v0, v52, v0 dst_sel:DWORD dst_unused:UNUSED_PAD src0_sel:WORD_1 src1_sel:DWORD
	s_or_b32 vcc_lo, s0, vcc_lo
	v_lshlrev_b32_e32 v13, v13, v16
	v_add_co_ci_u32_e32 v19, vcc_lo, 0, v10, vcc_lo
	v_cmp_ne_u32_e32 vcc_lo, 0, v17
	v_cvt_f32_f16_e32 v11, v21
	v_and_b32_e32 v2, 0xffff, v2
	v_fma_f16 v0, v52, v15, -v0
	v_cndmask_b32_e64 v17, 0, 1, vcc_lo
	v_cmp_ne_u32_e32 vcc_lo, v13, v20
	v_cvt_f64_f32_e32 v[10:11], v11
	v_lshrrev_b32_e32 v20, 16, v7
	v_cvt_f32_f16_e32 v0, v0
	v_lshl_or_b32 v17, v17, 9, 0x7c00
	v_cndmask_b32_e64 v13, 0, 1, vcc_lo
	v_cmp_gt_i32_e32 vcc_lo, 31, v14
	v_and_or_b32 v8, 0x1ff, v9, v8
	v_or_b32_e32 v13, v16, v13
	v_cndmask_b32_e32 v19, 0x7c00, v19, vcc_lo
	v_cmp_eq_u32_e32 vcc_lo, 0x40f, v14
	v_lshl_or_b32 v16, v18, 12, v5
	v_cndmask_b32_e32 v14, v19, v17, vcc_lo
	v_cmp_gt_i32_e32 vcc_lo, 1, v18
	v_lshrrev_b32_e32 v17, 8, v9
	v_bfe_u32 v19, v9, 20, 11
	v_lshrrev_b32_e32 v9, 16, v9
	v_cndmask_b32_e32 v13, v16, v13, vcc_lo
	v_cmp_ne_u32_e32 vcc_lo, 0, v8
	v_mul_f64 v[7:8], v[10:11], s[2:3]
	v_sub_nc_u32_e32 v10, 0x3f1, v19
	v_and_or_b32 v11, 0x8000, v20, v14
	v_and_b32_e32 v21, 7, v13
	v_cndmask_b32_e64 v16, 0, 1, vcc_lo
	v_lshrrev_b32_e32 v13, 2, v13
	v_med3_i32 v10, v10, 0, 13
	v_lshl_or_b32 v15, v11, 16, v2
	v_cmp_lt_i32_e32 vcc_lo, 5, v21
	v_and_or_b32 v16, 0xffe, v17, v16
	v_cmp_eq_u32_e64 s0, 3, v21
	v_or_b32_e32 v12, 0x1000, v16
	s_or_b32 vcc_lo, s0, vcc_lo
	v_add_co_ci_u32_e32 v13, vcc_lo, 0, v13, vcc_lo
	v_lshrrev_b32_e32 v14, v10, v12
	v_cmp_gt_i32_e32 vcc_lo, 31, v18
	v_and_or_b32 v7, 0x1ff, v8, v7
	v_bfe_u32 v17, v8, 20, 11
	v_lshlrev_b32_e32 v2, v10, v14
	v_cndmask_b32_e32 v13, 0x7c00, v13, vcc_lo
	v_cvt_f64_f32_e32 v[10:11], v0
	v_add_nc_u32_e32 v0, 0xfffffc10, v19
	v_cmp_ne_u32_e32 vcc_lo, v2, v12
	v_lshrrev_b32_e32 v12, 8, v8
	v_cndmask_b32_e64 v2, 0, 1, vcc_lo
	v_cmp_ne_u32_e32 vcc_lo, 0, v7
	v_or_b32_e32 v2, v14, v2
	v_cndmask_b32_e64 v7, 0, 1, vcc_lo
	v_cmp_ne_u32_e32 vcc_lo, 0, v5
	v_lshl_or_b32 v14, v0, 12, v16
	v_and_or_b32 v7, 0xffe, v12, v7
	v_cndmask_b32_e64 v5, 0, 1, vcc_lo
	v_cmp_gt_i32_e32 vcc_lo, 1, v0
	v_sub_nc_u32_e32 v12, 0x3f1, v17
	v_or_b32_e32 v19, 0x1000, v7
	v_lshl_or_b32 v5, v5, 9, 0x7c00
	v_cndmask_b32_e32 v14, v14, v2, vcc_lo
	v_cmp_eq_u32_e32 vcc_lo, 0x40f, v18
	v_med3_i32 v12, v12, 0, 13
	v_lshrrev_b32_e32 v18, 16, v6
	v_and_b32_e32 v20, 7, v14
	v_cndmask_b32_e32 v13, v13, v5, vcc_lo
	v_mul_f64 v[5:6], v[10:11], s[2:3]
	v_lshrrev_b32_e32 v21, v12, v19
	v_add_co_u32 v2, vcc_lo, v3, s5
	v_add_co_ci_u32_e32 v3, vcc_lo, s4, v4, vcc_lo
	v_mul_f16_sdwa v4, v51, v22 dst_sel:DWORD dst_unused:UNUSED_PAD src0_sel:WORD_1 src1_sel:DWORD
	v_lshlrev_b32_e32 v10, v12, v21
	v_cmp_lt_i32_e32 vcc_lo, 5, v20
	v_cmp_eq_u32_e64 s0, 3, v20
	v_lshrrev_b32_e32 v11, 2, v14
	v_fmac_f16_e32 v4, v51, v1
	v_cmp_ne_u32_e64 s1, v10, v19
	v_add_nc_u32_e32 v12, 0xfffffc10, v17
	s_or_b32 vcc_lo, s0, vcc_lo
	v_and_or_b32 v13, 0x8000, v18, v13
	v_add_co_ci_u32_e32 v14, vcc_lo, 0, v11, vcc_lo
	v_cndmask_b32_e64 v10, 0, 1, s1
	v_cvt_f32_f16_e32 v4, v4
	v_cmp_ne_u32_e32 vcc_lo, 0, v16
	v_mul_f16_sdwa v1, v51, v1 dst_sel:DWORD dst_unused:UNUSED_PAD src0_sel:WORD_1 src1_sel:DWORD
	v_and_or_b32 v5, 0x1ff, v6, v5
	v_or_b32_e32 v17, v21, v10
	v_cvt_f64_f32_e32 v[10:11], v4
	v_lshl_or_b32 v4, v12, 12, v7
	v_cndmask_b32_e64 v16, 0, 1, vcc_lo
	v_cmp_gt_i32_e32 vcc_lo, 1, v12
	v_bfe_u32 v18, v6, 20, 11
	v_fma_f16 v1, v51, v22, -v1
	v_lshl_or_b32 v16, v16, 9, 0x7c00
	v_cndmask_b32_e32 v17, v4, v17, vcc_lo
	v_cmp_ne_u32_e32 vcc_lo, 0, v5
	v_lshrrev_b32_e32 v5, 8, v6
	v_lshrrev_b32_e32 v6, 16, v6
	v_and_b32_e32 v19, 7, v17
	v_cndmask_b32_e64 v4, 0, 1, vcc_lo
	v_cmp_gt_i32_e32 vcc_lo, 31, v0
	v_cmp_eq_u32_e64 s0, 3, v19
	v_and_or_b32 v20, 0xffe, v5, v4
	v_cndmask_b32_e32 v14, 0x7c00, v14, vcc_lo
	v_cmp_eq_u32_e32 vcc_lo, 0x40f, v0
	v_mul_f64 v[4:5], v[10:11], s[2:3]
	v_and_b32_e32 v11, 0xffff, v13
	v_cndmask_b32_e32 v0, v14, v16, vcc_lo
	v_sub_nc_u32_e32 v14, 0x3f1, v18
	v_cmp_lt_i32_e32 vcc_lo, 5, v19
	v_or_b32_e32 v16, 0x1000, v20
	v_and_or_b32 v0, 0x8000, v9, v0
	v_lshrrev_b32_e32 v9, 2, v17
	v_med3_i32 v10, v14, 0, 13
	s_or_b32 vcc_lo, s0, vcc_lo
	v_lshrrev_b32_e32 v17, 16, v8
	v_lshl_or_b32 v14, v0, 16, v11
	v_add_co_ci_u32_e32 v9, vcc_lo, 0, v9, vcc_lo
	v_lshrrev_b32_e32 v13, v10, v16
	v_cmp_ne_u32_e32 vcc_lo, 0, v7
	ds_read_b32 v11, v49 offset:7616
	v_lshlrev_b32_e32 v0, v10, v13
	v_cndmask_b32_e64 v7, 0, 1, vcc_lo
	v_cmp_gt_i32_e32 vcc_lo, 31, v12
	v_and_or_b32 v4, 0x1ff, v5, v4
	v_lshl_or_b32 v7, v7, 9, 0x7c00
	v_cndmask_b32_e32 v9, 0x7c00, v9, vcc_lo
	v_cmp_ne_u32_e32 vcc_lo, v0, v16
	v_add_nc_u32_e32 v16, 0xfffffc10, v18
	v_cndmask_b32_e64 v0, 0, 1, vcc_lo
	v_cmp_eq_u32_e32 vcc_lo, 0x40f, v12
	v_lshl_or_b32 v10, v16, 12, v20
	v_lshrrev_b32_e32 v12, 8, v5
	v_cndmask_b32_e32 v9, v9, v7, vcc_lo
	v_cmp_ne_u32_e32 vcc_lo, 0, v4
	v_or_b32_e32 v7, v13, v0
	v_cvt_f32_f16_e32 v0, v1
	v_bfe_u32 v13, v5, 20, 11
	v_and_or_b32 v17, 0x8000, v17, v9
	v_cndmask_b32_e64 v4, 0, 1, vcc_lo
	v_cmp_gt_i32_e32 vcc_lo, 1, v16
	v_cvt_f64_f32_e32 v[0:1], v0
	v_lshrrev_b32_e32 v5, 16, v5
	v_and_or_b32 v4, 0xffe, v12, v4
	v_cndmask_b32_e32 v10, v10, v7, vcc_lo
	v_sub_nc_u32_e32 v7, 0x3f1, v13
	s_waitcnt lgkmcnt(0)
	v_lshrrev_b32_e32 v12, 16, v11
	v_add_nc_u32_e32 v13, 0xfffffc10, v13
	v_or_b32_e32 v19, 0x1000, v4
	v_and_b32_e32 v18, 7, v10
	v_med3_i32 v21, v7, 0, 13
	v_mul_f16_sdwa v22, v50, v12 dst_sel:DWORD dst_unused:UNUSED_PAD src0_sel:WORD_1 src1_sel:DWORD
	v_add_co_u32 v7, vcc_lo, v2, s5
	v_add_co_ci_u32_e32 v8, vcc_lo, s4, v3, vcc_lo
	v_lshrrev_b32_e32 v23, v21, v19
	v_fmac_f16_e32 v22, v50, v11
	v_cmp_lt_i32_e32 vcc_lo, 5, v18
	v_cmp_eq_u32_e64 s0, 3, v18
	v_lshrrev_b32_e32 v9, 2, v10
	v_lshlrev_b32_e32 v18, v21, v23
	v_cvt_f32_f16_e32 v10, v22
	v_mul_f64 v[0:1], v[0:1], s[2:3]
	s_or_b32 vcc_lo, s0, vcc_lo
	v_mul_f16_sdwa v11, v50, v11 dst_sel:DWORD dst_unused:UNUSED_PAD src0_sel:WORD_1 src1_sel:DWORD
	v_add_co_ci_u32_e32 v21, vcc_lo, 0, v9, vcc_lo
	v_cmp_ne_u32_e32 vcc_lo, v18, v19
	v_cvt_f64_f32_e32 v[9:10], v10
	v_fma_f16 v11, v50, v12, -v11
	v_cndmask_b32_e64 v18, 0, 1, vcc_lo
	v_cmp_ne_u32_e32 vcc_lo, 0, v20
	v_lshl_or_b32 v20, v13, 12, v4
	v_cvt_f32_f16_e32 v11, v11
	v_or_b32_e32 v18, v23, v18
	v_cndmask_b32_e64 v19, 0, 1, vcc_lo
	v_cmp_gt_i32_e32 vcc_lo, 31, v16
	v_lshl_or_b32 v19, v19, 9, 0x7c00
	v_cndmask_b32_e32 v12, 0x7c00, v21, vcc_lo
	v_cmp_gt_i32_e32 vcc_lo, 1, v13
	v_and_or_b32 v0, 0x1ff, v1, v0
	v_bfe_u32 v21, v1, 20, 11
	v_cndmask_b32_e32 v18, v20, v18, vcc_lo
	v_cmp_eq_u32_e32 vcc_lo, 0x40f, v16
	v_mul_f64 v[9:10], v[9:10], s[2:3]
	v_lshrrev_b32_e32 v20, 8, v1
	v_lshrrev_b32_e32 v1, 16, v1
	v_cndmask_b32_e32 v16, v12, v19, vcc_lo
	v_cvt_f64_f32_e32 v[11:12], v11
	v_cmp_ne_u32_e32 vcc_lo, 0, v0
	v_and_b32_e32 v19, 7, v18
	v_and_or_b32 v6, 0x8000, v6, v16
	v_and_b32_e32 v16, 0xffff, v17
	v_cndmask_b32_e64 v0, 0, 1, vcc_lo
	v_cmp_lt_i32_e32 vcc_lo, 5, v19
	v_cmp_eq_u32_e64 s0, 3, v19
	v_sub_nc_u32_e32 v17, 0x3f1, v21
	v_lshl_or_b32 v6, v6, 16, v16
	v_lshrrev_b32_e32 v16, 2, v18
	v_and_or_b32 v0, 0xffe, v20, v0
	s_or_b32 vcc_lo, s0, vcc_lo
	v_med3_i32 v17, v17, 0, 13
	v_add_co_ci_u32_e32 v16, vcc_lo, 0, v16, vcc_lo
	v_or_b32_e32 v18, 0x1000, v0
	v_cmp_ne_u32_e32 vcc_lo, 0, v4
	v_and_or_b32 v9, 0x1ff, v10, v9
	v_lshrrev_b32_e32 v20, 8, v10
	v_mul_f64 v[11:12], v[11:12], s[2:3]
	v_lshrrev_b32_e32 v19, v17, v18
	v_cndmask_b32_e64 v4, 0, 1, vcc_lo
	v_cmp_gt_i32_e32 vcc_lo, 31, v13
	v_bfe_u32 v22, v10, 20, 11
	v_lshrrev_b32_e32 v10, 16, v10
	v_lshlrev_b32_e32 v17, v17, v19
	v_lshl_or_b32 v4, v4, 9, 0x7c00
	v_cndmask_b32_e32 v16, 0x7c00, v16, vcc_lo
	v_cmp_ne_u32_e32 vcc_lo, 0, v9
	v_cndmask_b32_e64 v9, 0, 1, vcc_lo
	v_cmp_ne_u32_e32 vcc_lo, v17, v18
	v_add_nc_u32_e32 v18, 0xfffffc10, v21
	v_and_or_b32 v9, 0xffe, v20, v9
	v_cndmask_b32_e64 v17, 0, 1, vcc_lo
	v_sub_nc_u32_e32 v20, 0x3f1, v22
	v_cmp_eq_u32_e32 vcc_lo, 0x40f, v13
	v_and_or_b32 v11, 0x1ff, v12, v11
	v_bfe_u32 v21, v12, 20, 11
	v_or_b32_e32 v13, v19, v17
	v_or_b32_e32 v17, 0x1000, v9
	v_cndmask_b32_e32 v4, v16, v4, vcc_lo
	v_lshl_or_b32 v16, v18, 12, v0
	v_med3_i32 v19, v20, 0, 13
	v_cmp_gt_i32_e32 vcc_lo, 1, v18
	v_lshrrev_b32_e32 v20, 8, v12
	v_and_or_b32 v4, 0x8000, v5, v4
	v_cndmask_b32_e32 v13, v16, v13, vcc_lo
	v_lshrrev_b32_e32 v16, v19, v17
	v_cmp_ne_u32_e32 vcc_lo, 0, v11
	v_and_b32_e32 v4, 0xffff, v4
	v_and_b32_e32 v23, 7, v13
	v_lshlrev_b32_e32 v19, v19, v16
	v_cndmask_b32_e64 v11, 0, 1, vcc_lo
	v_lshrrev_b32_e32 v13, 2, v13
	v_cmp_lt_i32_e32 vcc_lo, 5, v23
	v_cmp_ne_u32_e64 s0, v19, v17
	v_and_or_b32 v5, 0xffe, v20, v11
	v_sub_nc_u32_e32 v11, 0x3f1, v21
	v_add_nc_u32_e32 v20, 0xfffffc10, v22
	v_cndmask_b32_e64 v17, 0, 1, s0
	v_cmp_eq_u32_e64 s0, 3, v23
	v_or_b32_e32 v19, 0x1000, v5
	v_med3_i32 v11, v11, 0, 13
	v_lshl_or_b32 v22, v20, 12, v9
	v_or_b32_e32 v16, v16, v17
	s_or_b32 vcc_lo, s0, vcc_lo
	v_add_co_ci_u32_e32 v13, vcc_lo, 0, v13, vcc_lo
	v_lshrrev_b32_e32 v17, v11, v19
	v_cmp_gt_i32_e32 vcc_lo, 1, v20
	v_lshlrev_b32_e32 v11, v11, v17
	v_cndmask_b32_e32 v16, v22, v16, vcc_lo
	v_cmp_ne_u32_e32 vcc_lo, 0, v0
	v_cndmask_b32_e64 v0, 0, 1, vcc_lo
	v_cmp_ne_u32_e32 vcc_lo, v11, v19
	v_add_nc_u32_e32 v19, 0xfffffc10, v21
	v_and_b32_e32 v21, 7, v16
	v_lshl_or_b32 v0, v0, 9, 0x7c00
	v_cndmask_b32_e64 v11, 0, 1, vcc_lo
	v_cmp_gt_i32_e32 vcc_lo, 31, v18
	v_cmp_gt_i32_e64 s1, 1, v19
	v_cmp_eq_u32_e64 s0, 3, v21
	v_or_b32_e32 v11, v17, v11
	v_lshl_or_b32 v17, v19, 12, v5
	v_cndmask_b32_e32 v13, 0x7c00, v13, vcc_lo
	v_cmp_lt_i32_e32 vcc_lo, 5, v21
	v_cndmask_b32_e64 v11, v17, v11, s1
	v_cmp_eq_u32_e64 s1, 0x40f, v18
	s_or_b32 vcc_lo, s0, vcc_lo
	v_cndmask_b32_e64 v0, v13, v0, s1
	v_lshrrev_b32_e32 v13, 2, v16
	v_and_b32_e32 v16, 7, v11
	v_lshrrev_b32_e32 v11, 2, v11
	v_cmp_gt_i32_e64 s1, 31, v20
	v_add_co_ci_u32_e32 v13, vcc_lo, 0, v13, vcc_lo
	v_cmp_ne_u32_e32 vcc_lo, 0, v9
	v_cmp_eq_u32_e64 s0, 3, v16
	v_cndmask_b32_e64 v13, 0x7c00, v13, s1
	v_cndmask_b32_e64 v9, 0, 1, vcc_lo
	v_cmp_lt_i32_e32 vcc_lo, 5, v16
	v_lshl_or_b32 v9, v9, 9, 0x7c00
	s_or_b32 vcc_lo, s0, vcc_lo
	v_add_co_ci_u32_e32 v11, vcc_lo, 0, v11, vcc_lo
	v_cmp_ne_u32_e32 vcc_lo, 0, v5
	v_cndmask_b32_e64 v5, 0, 1, vcc_lo
	v_cmp_eq_u32_e32 vcc_lo, 0x40f, v20
	v_lshl_or_b32 v5, v5, 9, 0x7c00
	v_cndmask_b32_e32 v9, v13, v9, vcc_lo
	v_cmp_gt_i32_e32 vcc_lo, 31, v19
	v_and_or_b32 v13, 0x8000, v1, v0
	v_and_or_b32 v9, 0x8000, v10, v9
	v_cndmask_b32_e32 v11, 0x7c00, v11, vcc_lo
	v_cmp_eq_u32_e32 vcc_lo, 0x40f, v19
	v_lshrrev_b32_e32 v10, 16, v12
	v_and_b32_e32 v9, 0xffff, v9
	v_cndmask_b32_e32 v5, v11, v5, vcc_lo
	v_add_co_u32 v0, vcc_lo, v7, s5
	v_add_co_ci_u32_e32 v1, vcc_lo, s4, v8, vcc_lo
	v_lshl_or_b32 v11, v13, 16, v4
	v_and_or_b32 v10, 0x8000, v10, v5
	v_add_co_u32 v4, vcc_lo, v0, s5
	v_add_co_ci_u32_e32 v5, vcc_lo, s4, v1, vcc_lo
	v_lshl_or_b32 v12, v10, 16, v9
	v_add_co_u32 v9, vcc_lo, v4, s5
	v_add_co_ci_u32_e32 v10, vcc_lo, s4, v5, vcc_lo
	global_store_dword v[2:3], v15, off
	global_store_dword v[7:8], v14, off
	;; [unrolled: 1-line block ×5, first 2 shown]
.LBB0_10:
	s_endpgm
	.section	.rodata,"a",@progbits
	.p2align	6, 0x0
	.amdhsa_kernel bluestein_single_back_len2023_dim1_half_op_CI_CI
		.amdhsa_group_segment_fixed_size 8092
		.amdhsa_private_segment_fixed_size 0
		.amdhsa_kernarg_size 104
		.amdhsa_user_sgpr_count 6
		.amdhsa_user_sgpr_private_segment_buffer 1
		.amdhsa_user_sgpr_dispatch_ptr 0
		.amdhsa_user_sgpr_queue_ptr 0
		.amdhsa_user_sgpr_kernarg_segment_ptr 1
		.amdhsa_user_sgpr_dispatch_id 0
		.amdhsa_user_sgpr_flat_scratch_init 0
		.amdhsa_user_sgpr_private_segment_size 0
		.amdhsa_wavefront_size32 1
		.amdhsa_uses_dynamic_stack 0
		.amdhsa_system_sgpr_private_segment_wavefront_offset 0
		.amdhsa_system_sgpr_workgroup_id_x 1
		.amdhsa_system_sgpr_workgroup_id_y 0
		.amdhsa_system_sgpr_workgroup_id_z 0
		.amdhsa_system_sgpr_workgroup_info 0
		.amdhsa_system_vgpr_workitem_id 0
		.amdhsa_next_free_vgpr 218
		.amdhsa_next_free_sgpr 20
		.amdhsa_reserve_vcc 1
		.amdhsa_reserve_flat_scratch 0
		.amdhsa_float_round_mode_32 0
		.amdhsa_float_round_mode_16_64 0
		.amdhsa_float_denorm_mode_32 3
		.amdhsa_float_denorm_mode_16_64 3
		.amdhsa_dx10_clamp 1
		.amdhsa_ieee_mode 1
		.amdhsa_fp16_overflow 0
		.amdhsa_workgroup_processor_mode 1
		.amdhsa_memory_ordered 1
		.amdhsa_forward_progress 0
		.amdhsa_shared_vgpr_count 0
		.amdhsa_exception_fp_ieee_invalid_op 0
		.amdhsa_exception_fp_denorm_src 0
		.amdhsa_exception_fp_ieee_div_zero 0
		.amdhsa_exception_fp_ieee_overflow 0
		.amdhsa_exception_fp_ieee_underflow 0
		.amdhsa_exception_fp_ieee_inexact 0
		.amdhsa_exception_int_div_zero 0
	.end_amdhsa_kernel
	.text
.Lfunc_end0:
	.size	bluestein_single_back_len2023_dim1_half_op_CI_CI, .Lfunc_end0-bluestein_single_back_len2023_dim1_half_op_CI_CI
                                        ; -- End function
	.section	.AMDGPU.csdata,"",@progbits
; Kernel info:
; codeLenInByte = 39532
; NumSgprs: 22
; NumVgprs: 218
; ScratchSize: 0
; MemoryBound: 0
; FloatMode: 240
; IeeeMode: 1
; LDSByteSize: 8092 bytes/workgroup (compile time only)
; SGPRBlocks: 2
; VGPRBlocks: 27
; NumSGPRsForWavesPerEU: 22
; NumVGPRsForWavesPerEU: 218
; Occupancy: 4
; WaveLimiterHint : 1
; COMPUTE_PGM_RSRC2:SCRATCH_EN: 0
; COMPUTE_PGM_RSRC2:USER_SGPR: 6
; COMPUTE_PGM_RSRC2:TRAP_HANDLER: 0
; COMPUTE_PGM_RSRC2:TGID_X_EN: 1
; COMPUTE_PGM_RSRC2:TGID_Y_EN: 0
; COMPUTE_PGM_RSRC2:TGID_Z_EN: 0
; COMPUTE_PGM_RSRC2:TIDIG_COMP_CNT: 0
	.text
	.p2alignl 6, 3214868480
	.fill 48, 4, 3214868480
	.type	__hip_cuid_36f3d1b5e0161b28,@object ; @__hip_cuid_36f3d1b5e0161b28
	.section	.bss,"aw",@nobits
	.globl	__hip_cuid_36f3d1b5e0161b28
__hip_cuid_36f3d1b5e0161b28:
	.byte	0                               ; 0x0
	.size	__hip_cuid_36f3d1b5e0161b28, 1

	.ident	"AMD clang version 19.0.0git (https://github.com/RadeonOpenCompute/llvm-project roc-6.4.0 25133 c7fe45cf4b819c5991fe208aaa96edf142730f1d)"
	.section	".note.GNU-stack","",@progbits
	.addrsig
	.addrsig_sym __hip_cuid_36f3d1b5e0161b28
	.amdgpu_metadata
---
amdhsa.kernels:
  - .args:
      - .actual_access:  read_only
        .address_space:  global
        .offset:         0
        .size:           8
        .value_kind:     global_buffer
      - .actual_access:  read_only
        .address_space:  global
        .offset:         8
        .size:           8
        .value_kind:     global_buffer
      - .actual_access:  read_only
        .address_space:  global
        .offset:         16
        .size:           8
        .value_kind:     global_buffer
      - .actual_access:  read_only
        .address_space:  global
        .offset:         24
        .size:           8
        .value_kind:     global_buffer
      - .actual_access:  read_only
        .address_space:  global
        .offset:         32
        .size:           8
        .value_kind:     global_buffer
      - .offset:         40
        .size:           8
        .value_kind:     by_value
      - .address_space:  global
        .offset:         48
        .size:           8
        .value_kind:     global_buffer
      - .address_space:  global
        .offset:         56
        .size:           8
        .value_kind:     global_buffer
      - .address_space:  global
        .offset:         64
        .size:           8
        .value_kind:     global_buffer
      - .address_space:  global
        .offset:         72
        .size:           8
        .value_kind:     global_buffer
      - .offset:         80
        .size:           4
        .value_kind:     by_value
      - .address_space:  global
        .offset:         88
        .size:           8
        .value_kind:     global_buffer
      - .address_space:  global
        .offset:         96
        .size:           8
        .value_kind:     global_buffer
    .group_segment_fixed_size: 8092
    .kernarg_segment_align: 8
    .kernarg_segment_size: 104
    .language:       OpenCL C
    .language_version:
      - 2
      - 0
    .max_flat_workgroup_size: 119
    .name:           bluestein_single_back_len2023_dim1_half_op_CI_CI
    .private_segment_fixed_size: 0
    .sgpr_count:     22
    .sgpr_spill_count: 0
    .symbol:         bluestein_single_back_len2023_dim1_half_op_CI_CI.kd
    .uniform_work_group_size: 1
    .uses_dynamic_stack: false
    .vgpr_count:     218
    .vgpr_spill_count: 0
    .wavefront_size: 32
    .workgroup_processor_mode: 1
amdhsa.target:   amdgcn-amd-amdhsa--gfx1030
amdhsa.version:
  - 1
  - 2
...

	.end_amdgpu_metadata
